;; amdgpu-corpus repo=ROCm/rocFFT kind=compiled arch=gfx1030 opt=O3
	.text
	.amdgcn_target "amdgcn-amd-amdhsa--gfx1030"
	.amdhsa_code_object_version 6
	.protected	fft_rtc_fwd_len1122_factors_17_11_6_wgs_204_tpt_102_halfLds_sp_op_CI_CI_sbrr_dirReg ; -- Begin function fft_rtc_fwd_len1122_factors_17_11_6_wgs_204_tpt_102_halfLds_sp_op_CI_CI_sbrr_dirReg
	.globl	fft_rtc_fwd_len1122_factors_17_11_6_wgs_204_tpt_102_halfLds_sp_op_CI_CI_sbrr_dirReg
	.p2align	8
	.type	fft_rtc_fwd_len1122_factors_17_11_6_wgs_204_tpt_102_halfLds_sp_op_CI_CI_sbrr_dirReg,@function
fft_rtc_fwd_len1122_factors_17_11_6_wgs_204_tpt_102_halfLds_sp_op_CI_CI_sbrr_dirReg: ; @fft_rtc_fwd_len1122_factors_17_11_6_wgs_204_tpt_102_halfLds_sp_op_CI_CI_sbrr_dirReg
; %bb.0:
	s_clause 0x2
	s_load_dwordx4 s[16:19], s[4:5], 0x18
	s_load_dwordx4 s[8:11], s[4:5], 0x0
	;; [unrolled: 1-line block ×3, first 2 shown]
	v_mul_u32_u24_e32 v1, 0x283, v0
	v_mov_b32_e32 v7, 0
	v_mov_b32_e32 v5, 0
	;; [unrolled: 1-line block ×3, first 2 shown]
	s_waitcnt lgkmcnt(0)
	s_load_dwordx2 s[20:21], s[16:17], 0x0
	s_load_dwordx2 s[2:3], s[18:19], 0x0
	v_lshrrev_b32_e32 v42, 16, v1
	v_cmp_lt_u64_e64 s0, s[10:11], 2
	v_mov_b32_e32 v10, v7
	v_lshl_add_u32 v9, s6, 1, v42
	s_and_b32 vcc_lo, exec_lo, s0
	s_cbranch_vccnz .LBB0_8
; %bb.1:
	s_load_dwordx2 s[0:1], s[4:5], 0x10
	v_mov_b32_e32 v5, 0
	v_mov_b32_e32 v6, 0
	s_add_u32 s6, s18, 8
	s_addc_u32 s7, s19, 0
	v_mov_b32_e32 v1, v5
	s_add_u32 s22, s16, 8
	v_mov_b32_e32 v2, v6
	s_addc_u32 s23, s17, 0
	s_mov_b64 s[26:27], 1
	s_waitcnt lgkmcnt(0)
	s_add_u32 s24, s0, 8
	s_addc_u32 s25, s1, 0
.LBB0_2:                                ; =>This Inner Loop Header: Depth=1
	s_load_dwordx2 s[28:29], s[24:25], 0x0
                                        ; implicit-def: $vgpr3_vgpr4
	s_mov_b32 s0, exec_lo
	s_waitcnt lgkmcnt(0)
	v_or_b32_e32 v8, s29, v10
	v_cmpx_ne_u64_e32 0, v[7:8]
	s_xor_b32 s1, exec_lo, s0
	s_cbranch_execz .LBB0_4
; %bb.3:                                ;   in Loop: Header=BB0_2 Depth=1
	v_cvt_f32_u32_e32 v3, s28
	v_cvt_f32_u32_e32 v4, s29
	s_sub_u32 s0, 0, s28
	s_subb_u32 s30, 0, s29
	v_fmac_f32_e32 v3, 0x4f800000, v4
	v_rcp_f32_e32 v3, v3
	v_mul_f32_e32 v3, 0x5f7ffffc, v3
	v_mul_f32_e32 v4, 0x2f800000, v3
	v_trunc_f32_e32 v4, v4
	v_fmac_f32_e32 v3, 0xcf800000, v4
	v_cvt_u32_f32_e32 v4, v4
	v_cvt_u32_f32_e32 v3, v3
	v_mul_lo_u32 v8, s0, v4
	v_mul_hi_u32 v11, s0, v3
	v_mul_lo_u32 v12, s30, v3
	v_add_nc_u32_e32 v8, v11, v8
	v_mul_lo_u32 v11, s0, v3
	v_add_nc_u32_e32 v8, v8, v12
	v_mul_hi_u32 v12, v3, v11
	v_mul_lo_u32 v13, v3, v8
	v_mul_hi_u32 v14, v3, v8
	v_mul_hi_u32 v15, v4, v11
	v_mul_lo_u32 v11, v4, v11
	v_mul_hi_u32 v16, v4, v8
	v_mul_lo_u32 v8, v4, v8
	v_add_co_u32 v12, vcc_lo, v12, v13
	v_add_co_ci_u32_e32 v13, vcc_lo, 0, v14, vcc_lo
	v_add_co_u32 v11, vcc_lo, v12, v11
	v_add_co_ci_u32_e32 v11, vcc_lo, v13, v15, vcc_lo
	v_add_co_ci_u32_e32 v12, vcc_lo, 0, v16, vcc_lo
	v_add_co_u32 v8, vcc_lo, v11, v8
	v_add_co_ci_u32_e32 v11, vcc_lo, 0, v12, vcc_lo
	v_add_co_u32 v3, vcc_lo, v3, v8
	v_add_co_ci_u32_e32 v4, vcc_lo, v4, v11, vcc_lo
	v_mul_hi_u32 v8, s0, v3
	v_mul_lo_u32 v12, s30, v3
	v_mul_lo_u32 v11, s0, v4
	v_add_nc_u32_e32 v8, v8, v11
	v_mul_lo_u32 v11, s0, v3
	v_add_nc_u32_e32 v8, v8, v12
	v_mul_hi_u32 v12, v3, v11
	v_mul_lo_u32 v13, v3, v8
	v_mul_hi_u32 v14, v3, v8
	v_mul_hi_u32 v15, v4, v11
	v_mul_lo_u32 v11, v4, v11
	v_mul_hi_u32 v16, v4, v8
	v_mul_lo_u32 v8, v4, v8
	v_add_co_u32 v12, vcc_lo, v12, v13
	v_add_co_ci_u32_e32 v13, vcc_lo, 0, v14, vcc_lo
	v_add_co_u32 v11, vcc_lo, v12, v11
	v_add_co_ci_u32_e32 v11, vcc_lo, v13, v15, vcc_lo
	v_add_co_ci_u32_e32 v12, vcc_lo, 0, v16, vcc_lo
	v_add_co_u32 v8, vcc_lo, v11, v8
	v_add_co_ci_u32_e32 v11, vcc_lo, 0, v12, vcc_lo
	v_add_co_u32 v8, vcc_lo, v3, v8
	v_add_co_ci_u32_e32 v13, vcc_lo, v4, v11, vcc_lo
	v_mul_hi_u32 v15, v9, v8
	v_mad_u64_u32 v[11:12], null, v10, v8, 0
	v_mad_u64_u32 v[3:4], null, v9, v13, 0
	;; [unrolled: 1-line block ×3, first 2 shown]
	v_add_co_u32 v3, vcc_lo, v15, v3
	v_add_co_ci_u32_e32 v4, vcc_lo, 0, v4, vcc_lo
	v_add_co_u32 v3, vcc_lo, v3, v11
	v_add_co_ci_u32_e32 v3, vcc_lo, v4, v12, vcc_lo
	v_add_co_ci_u32_e32 v4, vcc_lo, 0, v14, vcc_lo
	v_add_co_u32 v8, vcc_lo, v3, v13
	v_add_co_ci_u32_e32 v11, vcc_lo, 0, v4, vcc_lo
	v_mul_lo_u32 v12, s29, v8
	v_mad_u64_u32 v[3:4], null, s28, v8, 0
	v_mul_lo_u32 v13, s28, v11
	v_sub_co_u32 v3, vcc_lo, v9, v3
	v_add3_u32 v4, v4, v13, v12
	v_sub_nc_u32_e32 v12, v10, v4
	v_subrev_co_ci_u32_e64 v12, s0, s29, v12, vcc_lo
	v_add_co_u32 v13, s0, v8, 2
	v_add_co_ci_u32_e64 v14, s0, 0, v11, s0
	v_sub_co_u32 v15, s0, v3, s28
	v_sub_co_ci_u32_e32 v4, vcc_lo, v10, v4, vcc_lo
	v_subrev_co_ci_u32_e64 v12, s0, 0, v12, s0
	v_cmp_le_u32_e32 vcc_lo, s28, v15
	v_cmp_eq_u32_e64 s0, s29, v4
	v_cndmask_b32_e64 v15, 0, -1, vcc_lo
	v_cmp_le_u32_e32 vcc_lo, s29, v12
	v_cndmask_b32_e64 v16, 0, -1, vcc_lo
	v_cmp_le_u32_e32 vcc_lo, s28, v3
	v_cndmask_b32_e64 v3, 0, -1, vcc_lo
	v_cmp_le_u32_e32 vcc_lo, s29, v4
	v_cndmask_b32_e64 v17, 0, -1, vcc_lo
	v_cmp_eq_u32_e32 vcc_lo, s29, v12
	v_cndmask_b32_e64 v3, v17, v3, s0
	v_cndmask_b32_e32 v12, v16, v15, vcc_lo
	v_add_co_u32 v15, vcc_lo, v8, 1
	v_add_co_ci_u32_e32 v16, vcc_lo, 0, v11, vcc_lo
	v_cmp_ne_u32_e32 vcc_lo, 0, v12
	v_cndmask_b32_e32 v4, v16, v14, vcc_lo
	v_cndmask_b32_e32 v12, v15, v13, vcc_lo
	v_cmp_ne_u32_e32 vcc_lo, 0, v3
	v_cndmask_b32_e32 v4, v11, v4, vcc_lo
	v_cndmask_b32_e32 v3, v8, v12, vcc_lo
.LBB0_4:                                ;   in Loop: Header=BB0_2 Depth=1
	s_andn2_saveexec_b32 s0, s1
	s_cbranch_execz .LBB0_6
; %bb.5:                                ;   in Loop: Header=BB0_2 Depth=1
	v_cvt_f32_u32_e32 v3, s28
	s_sub_i32 s1, 0, s28
	v_rcp_iflag_f32_e32 v3, v3
	v_mul_f32_e32 v3, 0x4f7ffffe, v3
	v_cvt_u32_f32_e32 v3, v3
	v_mul_lo_u32 v4, s1, v3
	v_mul_hi_u32 v4, v3, v4
	v_add_nc_u32_e32 v3, v3, v4
	v_mul_hi_u32 v3, v9, v3
	v_mul_lo_u32 v4, v3, s28
	v_add_nc_u32_e32 v8, 1, v3
	v_sub_nc_u32_e32 v4, v9, v4
	v_subrev_nc_u32_e32 v11, s28, v4
	v_cmp_le_u32_e32 vcc_lo, s28, v4
	v_cndmask_b32_e32 v4, v4, v11, vcc_lo
	v_cndmask_b32_e32 v3, v3, v8, vcc_lo
	v_cmp_le_u32_e32 vcc_lo, s28, v4
	v_add_nc_u32_e32 v8, 1, v3
	v_mov_b32_e32 v4, v7
	v_cndmask_b32_e32 v3, v3, v8, vcc_lo
.LBB0_6:                                ;   in Loop: Header=BB0_2 Depth=1
	s_or_b32 exec_lo, exec_lo, s0
	v_mul_lo_u32 v8, v4, s28
	v_mul_lo_u32 v13, v3, s29
	s_load_dwordx2 s[0:1], s[22:23], 0x0
	v_mad_u64_u32 v[11:12], null, v3, s28, 0
	s_load_dwordx2 s[28:29], s[6:7], 0x0
	s_add_u32 s26, s26, 1
	s_addc_u32 s27, s27, 0
	s_add_u32 s6, s6, 8
	s_addc_u32 s7, s7, 0
	s_add_u32 s22, s22, 8
	v_add3_u32 v8, v12, v13, v8
	v_sub_co_u32 v9, vcc_lo, v9, v11
	s_addc_u32 s23, s23, 0
	s_add_u32 s24, s24, 8
	v_sub_co_ci_u32_e32 v8, vcc_lo, v10, v8, vcc_lo
	s_addc_u32 s25, s25, 0
	s_waitcnt lgkmcnt(0)
	v_mul_lo_u32 v10, s0, v8
	v_mul_lo_u32 v11, s1, v9
	v_mad_u64_u32 v[5:6], null, s0, v9, v[5:6]
	v_mul_lo_u32 v8, s28, v8
	v_mul_lo_u32 v12, s29, v9
	v_mad_u64_u32 v[1:2], null, s28, v9, v[1:2]
	v_cmp_ge_u64_e64 s0, s[26:27], s[10:11]
	v_add3_u32 v6, v11, v6, v10
	v_add3_u32 v2, v12, v2, v8
	s_and_b32 vcc_lo, exec_lo, s0
	s_cbranch_vccnz .LBB0_9
; %bb.7:                                ;   in Loop: Header=BB0_2 Depth=1
	v_mov_b32_e32 v10, v4
	v_mov_b32_e32 v9, v3
	s_branch .LBB0_2
.LBB0_8:
	v_mov_b32_e32 v1, v5
	v_mov_b32_e32 v3, v9
	;; [unrolled: 1-line block ×4, first 2 shown]
.LBB0_9:
	s_load_dwordx2 s[0:1], s[4:5], 0x28
	v_mul_hi_u32 v7, 0x2828283, v0
	s_lshl_b64 s[6:7], s[10:11], 3
	v_mov_b32_e32 v9, 0
	v_mov_b32_e32 v8, 0
	s_add_u32 s4, s18, s6
	s_addc_u32 s5, s19, s7
                                        ; implicit-def: $vgpr21
                                        ; implicit-def: $vgpr19
                                        ; implicit-def: $vgpr11
                                        ; implicit-def: $vgpr23
                                        ; implicit-def: $vgpr17
                                        ; implicit-def: $vgpr15
                                        ; implicit-def: $vgpr13
                                        ; implicit-def: $vgpr33
                                        ; implicit-def: $vgpr25
                                        ; implicit-def: $vgpr29
                                        ; implicit-def: $vgpr31
                                        ; implicit-def: $vgpr37
                                        ; implicit-def: $vgpr41
                                        ; implicit-def: $vgpr27
                                        ; implicit-def: $vgpr35
                                        ; implicit-def: $vgpr39
	v_mul_u32_u24_e32 v7, 0x66, v7
	v_sub_nc_u32_e32 v0, v0, v7
	s_waitcnt lgkmcnt(0)
	v_cmp_gt_u64_e32 vcc_lo, s[0:1], v[3:4]
	v_cmp_gt_u32_e64 s0, 0x42, v0
	s_and_b32 s1, vcc_lo, s0
	s_and_saveexec_b32 s10, s1
	s_cbranch_execz .LBB0_11
; %bb.10:
	s_add_u32 s6, s16, s6
	s_addc_u32 s7, s17, s7
	v_add_nc_u32_e32 v19, 0x42, v0
	s_load_dwordx2 s[6:7], s[6:7], 0x0
	v_add_nc_u32_e32 v20, 0x84, v0
	v_add_nc_u32_e32 v21, 0xc6, v0
	v_mad_u64_u32 v[7:8], null, s20, v0, 0
	v_mad_u64_u32 v[9:10], null, s20, v19, 0
	;; [unrolled: 1-line block ×4, first 2 shown]
	v_lshlrev_b64 v[5:6], 3, v[5:6]
	v_add_nc_u32_e32 v26, 0x108, v0
	v_mad_u64_u32 v[17:18], null, s21, v0, v[8:9]
	v_mov_b32_e32 v8, v12
	v_mad_u64_u32 v[18:19], null, s21, v19, v[10:11]
	v_mov_b32_e32 v12, v14
	v_add_nc_u32_e32 v28, 0x1ce, v0
	s_waitcnt lgkmcnt(0)
	v_mul_lo_u32 v22, s7, v3
	v_mul_lo_u32 v23, s6, v4
	v_mad_u64_u32 v[15:16], null, s6, v3, 0
	v_mad_u64_u32 v[19:20], null, s21, v20, v[8:9]
	v_mov_b32_e32 v8, v17
	v_add_nc_u32_e32 v20, 0x14a, v0
	v_mov_b32_e32 v10, v18
	v_add_nc_u32_e32 v29, 0x210, v0
	v_add3_u32 v16, v16, v23, v22
	v_lshlrev_b64 v[7:8], 3, v[7:8]
	v_mad_u64_u32 v[22:23], null, s20, v26, 0
	v_lshlrev_b64 v[9:10], 3, v[9:10]
	v_lshlrev_b64 v[14:15], 3, v[15:16]
	v_mad_u64_u32 v[16:17], null, s21, v21, v[12:13]
	v_mad_u64_u32 v[24:25], null, s20, v20, 0
	v_mov_b32_e32 v12, v19
	v_add_co_u32 v14, s1, s12, v14
	v_add_co_ci_u32_e64 v15, s1, s13, v15, s1
	v_add_nc_u32_e32 v17, 0x18c, v0
	v_add_co_u32 v45, s1, v14, v5
	v_add_co_ci_u32_e64 v46, s1, v15, v6, s1
	v_lshlrev_b64 v[5:6], 3, v[11:12]
	v_add_co_u32 v7, s1, v45, v7
	v_add_co_ci_u32_e64 v8, s1, v46, v8, s1
	v_add_co_u32 v11, s1, v45, v9
	v_mov_b32_e32 v14, v16
	v_add_co_ci_u32_e64 v12, s1, v46, v10, s1
	v_mov_b32_e32 v9, v23
	v_mov_b32_e32 v10, v25
	v_lshlrev_b64 v[13:14], 3, v[13:14]
	v_add_co_u32 v5, s1, v45, v5
	v_add_co_ci_u32_e64 v6, s1, v46, v6, s1
	v_mad_u64_u32 v[15:16], null, s21, v26, v[9:10]
	v_mad_u64_u32 v[9:10], null, s21, v20, v[10:11]
	v_add_co_u32 v13, s1, v45, v13
	v_add_co_ci_u32_e64 v14, s1, v46, v14, s1
	v_mad_u64_u32 v[26:27], null, s20, v28, 0
	v_mov_b32_e32 v25, v9
	s_clause 0x3
	global_load_dwordx2 v[8:9], v[7:8], off
	global_load_dwordx2 v[20:21], v[11:12], off
	;; [unrolled: 1-line block ×4, first 2 shown]
	v_mov_b32_e32 v23, v15
	v_mad_u64_u32 v[15:16], null, s20, v17, 0
	v_lshlrev_b64 v[12:13], 3, v[24:25]
	v_mov_b32_e32 v14, v27
	v_lshlrev_b64 v[5:6], 3, v[22:23]
	v_mad_u64_u32 v[24:25], null, s20, v29, 0
	v_add_nc_u32_e32 v32, 0x252, v0
	v_mov_b32_e32 v7, v16
	v_mad_u64_u32 v[22:23], null, s21, v28, v[14:15]
	v_add_co_u32 v5, s1, v45, v5
	v_add_nc_u32_e32 v34, 0x294, v0
	v_add_co_ci_u32_e64 v6, s1, v46, v6, s1
	v_add_co_u32 v12, s1, v45, v12
	v_mov_b32_e32 v27, v22
	v_add_co_ci_u32_e64 v13, s1, v46, v13, s1
	v_mad_u64_u32 v[30:31], null, s20, v34, 0
	v_add_nc_u32_e32 v39, 0x39c, v0
	v_add_nc_u32_e32 v47, 0x3de, v0
	v_add_nc_u32_e32 v48, 0x420, v0
	v_mad_u64_u32 v[40:41], null, s20, v47, 0
	v_mad_u64_u32 v[43:44], null, s20, v48, 0
	s_waitcnt vmcnt(3)
	v_mad_u64_u32 v[16:17], null, s21, v17, v[7:8]
	v_mov_b32_e32 v7, v25
	v_mad_u64_u32 v[22:23], null, s21, v29, v[7:8]
	v_lshlrev_b64 v[14:15], 3, v[15:16]
	v_lshlrev_b64 v[16:17], 3, v[26:27]
	v_mad_u64_u32 v[26:27], null, s20, v32, 0
	v_add_co_u32 v14, s1, v45, v14
	v_add_co_ci_u32_e64 v15, s1, v46, v15, s1
	v_mov_b32_e32 v7, v27
	v_mov_b32_e32 v25, v22
	v_add_co_u32 v28, s1, v45, v16
	v_add_co_ci_u32_e64 v29, s1, v46, v17, s1
	v_mad_u64_u32 v[32:33], null, s21, v32, v[7:8]
	v_add_nc_u32_e32 v33, 0x2d6, v0
	s_clause 0x3
	global_load_dwordx2 v[22:23], v[5:6], off
	global_load_dwordx2 v[16:17], v[12:13], off
	;; [unrolled: 1-line block ×4, first 2 shown]
	v_lshlrev_b64 v[5:6], 3, v[24:25]
	v_mov_b32_e32 v7, v31
	v_mad_u64_u32 v[24:25], null, s20, v33, 0
	v_mov_b32_e32 v27, v32
	v_mad_u64_u32 v[28:29], null, s21, v34, v[7:8]
	v_add_nc_u32_e32 v32, 0x318, v0
	v_add_co_u32 v5, s1, v45, v5
	v_mov_b32_e32 v7, v25
	v_lshlrev_b64 v[25:26], 3, v[26:27]
	v_add_co_ci_u32_e64 v6, s1, v46, v6, s1
	v_mov_b32_e32 v31, v28
	v_mad_u64_u32 v[27:28], null, s21, v33, v[7:8]
	v_mad_u64_u32 v[28:29], null, s20, v32, 0
	v_add_nc_u32_e32 v33, 0x35a, v0
	v_lshlrev_b64 v[30:31], 3, v[30:31]
	v_add_co_u32 v34, s1, v45, v25
	v_add_co_ci_u32_e64 v35, s1, v46, v26, s1
	v_mov_b32_e32 v7, v29
	v_mad_u64_u32 v[36:37], null, s20, v33, 0
	v_add_co_u32 v26, s1, v45, v30
	v_mov_b32_e32 v25, v27
	v_mad_u64_u32 v[29:30], null, s21, v32, v[7:8]
	v_add_co_ci_u32_e64 v27, s1, v46, v31, s1
	v_mad_u64_u32 v[30:31], null, s20, v39, 0
	v_mov_b32_e32 v7, v37
	v_lshlrev_b64 v[24:25], 3, v[24:25]
	v_mad_u64_u32 v[37:38], null, s21, v33, v[7:8]
	v_mov_b32_e32 v7, v31
	v_add_co_u32 v24, s1, v45, v24
	v_add_co_ci_u32_e64 v25, s1, v46, v25, s1
	v_mad_u64_u32 v[31:32], null, s21, v39, v[7:8]
	s_clause 0x3
	global_load_dwordx2 v[32:33], v[5:6], off
	global_load_dwordx2 v[38:39], v[34:35], off
	;; [unrolled: 1-line block ×4, first 2 shown]
	v_lshlrev_b64 v[6:7], 3, v[28:29]
	v_mov_b32_e32 v5, v41
	v_lshlrev_b64 v[28:29], 3, v[36:37]
	v_lshlrev_b64 v[30:31], 3, v[30:31]
	v_mad_u64_u32 v[24:25], null, s21, v47, v[5:6]
	v_mov_b32_e32 v5, v44
	v_add_co_u32 v6, s1, v45, v6
	v_add_co_ci_u32_e64 v7, s1, v46, v7, s1
	v_mad_u64_u32 v[36:37], null, s21, v48, v[5:6]
	v_mov_b32_e32 v41, v24
	v_add_co_u32 v24, s1, v45, v28
	v_add_co_ci_u32_e64 v25, s1, v46, v29, s1
	v_lshlrev_b64 v[28:29], 3, v[40:41]
	v_mov_b32_e32 v44, v36
	v_add_co_u32 v30, s1, v45, v30
	v_add_co_ci_u32_e64 v31, s1, v46, v31, s1
	v_lshlrev_b64 v[36:37], 3, v[43:44]
	v_add_co_u32 v28, s1, v45, v28
	v_add_co_ci_u32_e64 v29, s1, v46, v29, s1
	v_add_co_u32 v43, s1, v45, v36
	v_add_co_ci_u32_e64 v44, s1, v46, v37, s1
	s_clause 0x4
	global_load_dwordx2 v[40:41], v[6:7], off
	global_load_dwordx2 v[36:37], v[24:25], off
	global_load_dwordx2 v[30:31], v[30:31], off
	global_load_dwordx2 v[28:29], v[28:29], off
	global_load_dwordx2 v[24:25], v[43:44], off
.LBB0_11:
	s_or_b32 exec_lo, exec_lo, s10
	s_waitcnt vmcnt(0)
	v_add_f32_e32 v45, v20, v24
	v_sub_f32_e32 v50, v21, v25
	v_add_f32_e32 v7, v18, v28
	v_sub_f32_e32 v51, v19, v29
	v_add_f32_e32 v43, v10, v30
	v_mul_f32_e32 v65, 0xbf1a4643, v45
	v_sub_f32_e32 v52, v11, v31
	v_mul_f32_e32 v64, 0xbe8c1d8e, v7
	v_add_f32_e32 v44, v22, v36
	v_mul_f32_e32 v60, 0x3f6eb680, v43
	v_fmamk_f32 v5, v50, 0xbf4c4adb, v65
	v_sub_f32_e32 v53, v23, v37
	v_fmamk_f32 v6, v51, 0x3f763a35, v64
	v_add_f32_e32 v46, v16, v40
	v_mul_f32_e32 v61, 0xbf59a7d5, v44
	v_add_f32_e32 v5, v8, v5
	v_fmamk_f32 v48, v52, 0xbeb8f4ab, v60
	v_sub_f32_e32 v54, v17, v41
	v_add_f32_e32 v47, v14, v26
	v_mul_f32_e32 v62, 0x3dbcf732, v46
	v_add_f32_e32 v5, v5, v6
	v_fmamk_f32 v6, v53, 0xbf06c442, v61
	v_sub_f32_e32 v55, v15, v27
	v_mul_f32_e32 v63, 0x3f3d2fb0, v47
	v_fmamk_f32 v57, v54, 0x3f7ee86f, v62
	v_add_f32_e32 v5, v5, v48
	v_add_f32_e32 v48, v12, v34
	v_sub_f32_e32 v56, v13, v35
	v_add_f32_e32 v49, v32, v38
	v_add_f32_e32 v5, v5, v6
	v_fmamk_f32 v6, v55, 0xbf2c7751, v63
	v_mul_f32_e32 v59, 0xbf7ba420, v48
	v_mul_f32_e32 v58, 0x3ee437d1, v49
	v_add_f32_e32 v5, v5, v57
	v_sub_f32_e32 v57, v33, v39
	v_fmamk_f32 v66, v56, 0xbe3c28d5, v59
	v_add_f32_e32 v5, v5, v6
	v_and_b32_e32 v6, 1, v42
	v_fmamk_f32 v42, v57, 0x3f65296c, v58
	v_add_f32_e32 v5, v5, v66
	v_cmp_eq_u32_e64 s1, 1, v6
	v_add_f32_e32 v6, v5, v42
	v_cndmask_b32_e64 v66, 0, 0x462, s1
	v_lshlrev_b32_e32 v5, 2, v66
	s_and_saveexec_b32 s1, s0
	s_cbranch_execz .LBB0_13
; %bb.12:
	v_mul_f32_e32 v42, 0xbe3c28d5, v50
	v_mul_f32_e32 v68, 0x3eb8f4ab, v51
	;; [unrolled: 1-line block ×5, first 2 shown]
	v_fmamk_f32 v70, v45, 0xbf7ba420, v42
	v_fmamk_f32 v74, v7, 0x3f6eb680, v68
	;; [unrolled: 1-line block ×3, first 2 shown]
	v_fma_f32 v42, 0xbf7ba420, v45, -v42
	v_fmamk_f32 v80, v44, 0x3f3d2fb0, v71
	v_add_f32_e32 v70, v8, v70
	v_mul_f32_e32 v73, 0x3f65296c, v55
	v_fma_f32 v68, 0x3f6eb680, v7, -v68
	v_add_f32_e32 v42, v8, v42
	v_fmamk_f32 v81, v46, 0xbf1a4643, v72
	v_add_f32_e32 v70, v70, v74
	v_mul_f32_e32 v75, 0xbf763a35, v56
	v_mul_f32_e32 v77, 0xbf06c442, v50
	v_fma_f32 v69, 0xbf59a7d5, v43, -v69
	v_add_f32_e32 v42, v42, v68
	v_add_f32_e32 v70, v70, v78
	v_fma_f32 v68, 0x3f3d2fb0, v44, -v71
	v_fmamk_f32 v71, v47, 0x3ee437d1, v73
	v_mul_f32_e32 v76, 0x3f7ee86f, v57
	v_mul_f32_e32 v74, 0x3f65296c, v51
	v_add_f32_e32 v70, v70, v80
	v_add_f32_e32 v42, v42, v69
	v_fmamk_f32 v69, v45, 0xbf59a7d5, v77
	v_fmamk_f32 v80, v48, 0xbe8c1d8e, v75
	v_mul_f32_e32 v79, 0xbf7ee86f, v52
	v_add_f32_e32 v70, v70, v81
	v_fma_f32 v72, 0xbf1a4643, v46, -v72
	v_add_f32_e32 v42, v42, v68
	v_fmamk_f32 v68, v49, 0x3dbcf732, v76
	v_add_f32_e32 v69, v8, v69
	v_add_f32_e32 v70, v70, v71
	v_fmamk_f32 v71, v7, 0x3ee437d1, v74
	v_fma_f32 v73, 0x3ee437d1, v47, -v73
	v_add_f32_e32 v42, v42, v72
	v_fmamk_f32 v72, v43, 0x3dbcf732, v79
	v_add_f32_e32 v70, v70, v80
	v_add_f32_e32 v69, v69, v71
	v_fma_f32 v71, 0xbf59a7d5, v45, -v77
	v_add_f32_e32 v42, v42, v73
	v_fma_f32 v73, 0xbe8c1d8e, v48, -v75
	v_add_f32_e32 v68, v70, v68
	v_mul_f32_e32 v70, 0x3f4c4adb, v53
	v_add_f32_e32 v69, v69, v72
	v_mul_f32_e32 v75, 0xbeb8f4ab, v54
	v_add_f32_e32 v71, v8, v71
	v_fma_f32 v74, 0x3ee437d1, v7, -v74
	v_fmamk_f32 v72, v44, 0xbf1a4643, v70
	v_add_f32_e32 v42, v42, v73
	v_mul_f32_e32 v73, 0xbe3c28d5, v55
	v_fma_f32 v70, 0xbf1a4643, v44, -v70
	v_add_f32_e32 v71, v71, v74
	v_add_f32_e32 v69, v69, v72
	v_fmamk_f32 v72, v46, 0x3f6eb680, v75
	v_fma_f32 v74, 0x3dbcf732, v43, -v79
	v_mul_f32_e32 v66, 0xbf4c4adb, v50
	v_fma_f32 v75, 0x3f6eb680, v46, -v75
	v_mul_f32_e32 v67, 0x3f763a35, v51
	v_add_f32_e32 v69, v69, v72
	v_fmamk_f32 v72, v47, 0xbf7ba420, v73
	v_add_f32_e32 v71, v71, v74
	v_mul_f32_e32 v74, 0x3f2c7751, v56
	v_sub_f32_e32 v65, v65, v66
	v_mul_f32_e32 v78, 0xbeb8f4ab, v52
	v_add_f32_e32 v69, v69, v72
	v_add_f32_e32 v70, v71, v70
	v_fmamk_f32 v72, v48, 0x3f3d2fb0, v74
	v_mul_f32_e32 v71, 0xbf763a35, v57
	v_add_f32_e32 v65, v8, v65
	v_sub_f32_e32 v64, v64, v67
	v_add_f32_e32 v70, v70, v75
	v_add_f32_e32 v69, v69, v72
	v_fmamk_f32 v75, v49, 0xbe8c1d8e, v71
	v_fma_f32 v73, 0xbf7ba420, v47, -v73
	v_mul_f32_e32 v77, 0xbf06c442, v53
	v_fma_f32 v76, 0x3dbcf732, v49, -v76
	v_add_f32_e32 v64, v65, v64
	v_add_f32_e32 v69, v69, v75
	v_mul_f32_e32 v75, 0xbf763a35, v50
	v_sub_f32_e32 v60, v60, v78
	v_add_f32_e32 v65, v70, v73
	v_fma_f32 v70, 0x3f3d2fb0, v48, -v74
	v_mul_f32_e32 v74, 0x3f06c442, v51
	v_fmamk_f32 v73, v45, 0xbe8c1d8e, v75
	v_add_f32_e32 v42, v42, v76
	v_mul_f32_e32 v76, 0x3f7ee86f, v54
	v_add_f32_e32 v60, v64, v60
	v_sub_f32_e32 v61, v61, v77
	v_add_f32_e32 v64, v65, v70
	v_add_f32_e32 v65, v8, v73
	v_fmamk_f32 v70, v7, 0xbf59a7d5, v74
	v_mul_f32_e32 v73, 0x3f2c7751, v52
	v_mul_f32_e32 v66, 0xbf2c7751, v55
	v_add_f32_e32 v60, v60, v61
	v_sub_f32_e32 v61, v62, v76
	v_fma_f32 v62, 0xbe8c1d8e, v49, -v71
	v_add_f32_e32 v65, v65, v70
	v_fmamk_f32 v70, v43, 0x3f3d2fb0, v73
	v_mul_f32_e32 v71, 0xbf65296c, v53
	v_mul_f32_e32 v72, 0xbe3c28d5, v56
	v_add_f32_e32 v60, v60, v61
	v_sub_f32_e32 v61, v63, v66
	v_add_f32_e32 v62, v64, v62
	v_add_f32_e32 v63, v65, v70
	v_fmamk_f32 v64, v44, 0x3ee437d1, v71
	v_mul_f32_e32 v65, 0xbe3c28d5, v54
	v_add_f32_e32 v60, v60, v61
	v_fma_f32 v61, 0xbe8c1d8e, v45, -v75
	v_sub_f32_e32 v59, v59, v72
	v_add_f32_e32 v63, v63, v64
	v_fmamk_f32 v64, v46, 0xbf7ba420, v65
	v_mul_f32_e32 v66, 0x3f7ee86f, v55
	v_mul_f32_e32 v67, 0x3f65296c, v57
	v_add_f32_e32 v61, v8, v61
	v_fma_f32 v70, 0xbf59a7d5, v7, -v74
	v_add_f32_e32 v59, v60, v59
	v_add_f32_e32 v60, v63, v64
	v_fmamk_f32 v63, v47, 0x3dbcf732, v66
	v_mul_f32_e32 v64, 0xbeb8f4ab, v56
	v_add_f32_e32 v61, v61, v70
	v_fma_f32 v70, 0x3f3d2fb0, v43, -v73
	v_sub_f32_e32 v58, v58, v67
	v_add_f32_e32 v60, v60, v63
	v_mul_f32_e32 v63, 0xbf7ee86f, v50
	v_fmamk_f32 v67, v48, 0x3f6eb680, v64
	v_add_f32_e32 v61, v61, v70
	v_fma_f32 v70, 0x3ee437d1, v44, -v71
	v_add_f32_e32 v58, v59, v58
	v_fmamk_f32 v59, v45, 0x3dbcf732, v63
	v_mul_f32_e32 v71, 0xbe3c28d5, v51
	v_add_f32_e32 v60, v60, v67
	v_add_f32_e32 v61, v61, v70
	v_fma_f32 v65, 0xbf7ba420, v46, -v65
	v_add_f32_e32 v59, v8, v59
	v_fmamk_f32 v67, v7, 0xbf7ba420, v71
	v_mul_f32_e32 v70, 0x3f763a35, v52
	v_mul_f32_e32 v72, 0xbf4c4adb, v57
	v_add_f32_e32 v61, v61, v65
	v_fma_f32 v65, 0x3dbcf732, v47, -v66
	v_add_f32_e32 v59, v59, v67
	v_fmamk_f32 v66, v43, 0xbe8c1d8e, v70
	v_mul_f32_e32 v67, 0x3eb8f4ab, v53
	v_fma_f32 v64, 0x3f6eb680, v48, -v64
	v_add_f32_e32 v61, v61, v65
	v_fmamk_f32 v73, v49, 0xbf1a4643, v72
	v_add_f32_e32 v59, v59, v66
	v_fmamk_f32 v65, v44, 0x3f6eb680, v67
	v_mul_f32_e32 v66, 0xbf65296c, v54
	v_add_f32_e32 v61, v61, v64
	v_fma_f32 v63, 0x3dbcf732, v45, -v63
	v_add_f32_e32 v60, v60, v73
	v_add_f32_e32 v59, v59, v65
	v_fmamk_f32 v64, v46, 0x3ee437d1, v66
	v_mul_f32_e32 v65, 0xbf06c442, v55
	v_add_f32_e32 v63, v8, v63
	v_fma_f32 v71, 0xbf7ba420, v7, -v71
	v_mul_f32_e32 v73, 0x3f4c4adb, v56
	v_add_f32_e32 v59, v59, v64
	v_fmamk_f32 v64, v47, 0xbf59a7d5, v65
	v_fma_f32 v70, 0xbe8c1d8e, v43, -v70
	v_add_f32_e32 v63, v63, v71
	v_mul_f32_e32 v71, 0xbf65296c, v50
	v_fma_f32 v72, 0xbf1a4643, v49, -v72
	v_add_f32_e32 v59, v59, v64
	v_fmamk_f32 v64, v48, 0xbf1a4643, v73
	v_add_f32_e32 v63, v63, v70
	v_fma_f32 v67, 0x3f6eb680, v44, -v67
	v_mul_f32_e32 v70, 0xbf4c4adb, v51
	v_add_f32_e32 v61, v61, v72
	v_add_f32_e32 v59, v59, v64
	v_fmamk_f32 v64, v45, 0x3ee437d1, v71
	v_fma_f32 v71, 0x3ee437d1, v45, -v71
	v_mul_f32_e32 v72, 0x3f2c7751, v57
	v_add_f32_e32 v63, v63, v67
	v_fma_f32 v66, 0x3ee437d1, v46, -v66
	v_add_f32_e32 v64, v8, v64
	v_fmamk_f32 v67, v7, 0xbf1a4643, v70
	v_mul_f32_e32 v75, 0x3e3c28d5, v52
	v_add_f32_e32 v71, v8, v71
	v_fma_f32 v70, 0xbf1a4643, v7, -v70
	v_fmamk_f32 v74, v49, 0x3f3d2fb0, v72
	v_add_f32_e32 v63, v63, v66
	v_add_f32_e32 v64, v64, v67
	v_fmamk_f32 v66, v43, 0xbf7ba420, v75
	v_mul_f32_e32 v67, 0x3f763a35, v53
	v_add_f32_e32 v70, v71, v70
	v_fma_f32 v71, 0xbf7ba420, v43, -v75
	v_add_f32_e32 v59, v59, v74
	v_fma_f32 v65, 0xbf59a7d5, v47, -v65
	v_add_f32_e32 v64, v64, v66
	v_fmamk_f32 v66, v44, 0xbe8c1d8e, v67
	v_mul_f32_e32 v74, 0x3f2c7751, v54
	v_add_f32_e32 v70, v70, v71
	v_fma_f32 v67, 0xbe8c1d8e, v44, -v67
	v_add_f32_e32 v63, v63, v65
	v_add_f32_e32 v64, v64, v66
	v_fmamk_f32 v65, v46, 0x3f3d2fb0, v74
	v_mul_f32_e32 v66, 0xbeb8f4ab, v55
	v_fma_f32 v71, 0xbf1a4643, v48, -v73
	v_add_f32_e32 v67, v70, v67
	v_fma_f32 v70, 0x3f3d2fb0, v46, -v74
	v_add_f32_e32 v64, v64, v65
	v_fmamk_f32 v65, v47, 0x3f6eb680, v66
	v_mul_f32_e32 v73, 0xbf7ee86f, v56
	v_add_f32_e32 v63, v63, v71
	v_fma_f32 v71, 0x3f3d2fb0, v49, -v72
	v_add_f32_e32 v67, v67, v70
	v_fma_f32 v66, 0x3f6eb680, v47, -v66
	v_mul_f32_e32 v70, 0xbf2c7751, v50
	v_add_f32_e32 v64, v64, v65
	v_fmamk_f32 v65, v48, 0x3dbcf732, v73
	v_add_f32_e32 v63, v63, v71
	v_add_f32_e32 v66, v67, v66
	v_fma_f32 v67, 0x3dbcf732, v48, -v73
	v_fmamk_f32 v71, v45, 0x3f3d2fb0, v70
	v_mul_f32_e32 v72, 0xbf7ee86f, v51
	v_fma_f32 v70, 0x3f3d2fb0, v45, -v70
	v_add_f32_e32 v64, v64, v65
	v_mul_f32_e32 v65, 0xbf06c442, v57
	v_add_f32_e32 v66, v66, v67
	v_add_f32_e32 v67, v8, v71
	v_fmamk_f32 v71, v7, 0x3dbcf732, v72
	v_mul_f32_e32 v74, 0xbf4c4adb, v52
	v_add_f32_e32 v70, v8, v70
	v_fma_f32 v72, 0x3dbcf732, v7, -v72
	v_fmamk_f32 v73, v49, 0xbf59a7d5, v65
	v_fma_f32 v65, 0xbf59a7d5, v49, -v65
	v_add_f32_e32 v67, v67, v71
	v_fmamk_f32 v71, v43, 0xbf1a4643, v74
	v_mul_f32_e32 v75, 0xbe3c28d5, v53
	v_add_f32_e32 v70, v70, v72
	v_fma_f32 v72, 0xbf1a4643, v43, -v74
	v_add_f32_e32 v65, v66, v65
	v_add_f32_e32 v66, v67, v71
	v_fmamk_f32 v67, v44, 0xbf7ba420, v75
	v_mul_f32_e32 v71, 0x3f06c442, v54
	v_add_f32_e32 v70, v70, v72
	v_add_f32_e32 v72, v8, v20
	v_fma_f32 v74, 0xbf7ba420, v44, -v75
	v_add_f32_e32 v66, v66, v67
	v_fmamk_f32 v67, v46, 0xbf59a7d5, v71
	v_mul_f32_e32 v75, 0x3f763a35, v55
	v_add_f32_e32 v72, v72, v18
	v_add_f32_e32 v70, v70, v74
	v_fma_f32 v71, 0xbf59a7d5, v46, -v71
	v_add_f32_e32 v66, v66, v67
	v_fmamk_f32 v67, v47, 0xbe8c1d8e, v75
	v_add_f32_e32 v72, v72, v10
	v_mul_f32_e32 v74, 0x3f65296c, v56
	v_add_f32_e32 v70, v70, v71
	v_fma_f32 v71, 0xbe8c1d8e, v47, -v75
	v_add_f32_e32 v66, v66, v67
	v_add_f32_e32 v67, v72, v22
	v_mul_f32_e32 v50, 0xbeb8f4ab, v50
	v_mul_f32_e32 v51, 0xbf2c7751, v51
	v_add_f32_e32 v70, v70, v71
	v_fma_f32 v71, 0x3ee437d1, v48, -v74
	v_add_f32_e32 v67, v67, v16
	v_mul_f32_e32 v52, 0xbf65296c, v52
	v_mul_f32_e32 v53, 0xbf7ee86f, v53
	;; [unrolled: 1-line block ×3, first 2 shown]
	v_add_f32_e32 v70, v70, v71
	v_add_f32_e32 v67, v67, v14
	v_fma_f32 v71, 0x3f6eb680, v45, -v50
	v_fmamk_f32 v45, v45, 0x3f6eb680, v50
	v_fmamk_f32 v72, v48, 0x3ee437d1, v74
	v_fma_f32 v74, 0x3f6eb680, v49, -v75
	v_add_f32_e32 v50, v67, v12
	v_add_f32_e32 v67, v8, v71
	;; [unrolled: 1-line block ×3, first 2 shown]
	v_fma_f32 v71, 0x3f3d2fb0, v7, -v51
	v_fmamk_f32 v7, v7, 0x3f3d2fb0, v51
	v_add_f32_e32 v45, v50, v32
	v_fma_f32 v51, 0x3ee437d1, v43, -v52
	v_add_f32_e32 v66, v66, v72
	v_add_f32_e32 v50, v67, v71
	;; [unrolled: 1-line block ×4, first 2 shown]
	v_fmamk_f32 v8, v43, 0x3ee437d1, v52
	v_fmamk_f32 v72, v49, 0x3f6eb680, v75
	v_add_f32_e32 v43, v50, v51
	v_fma_f32 v50, 0x3dbcf732, v44, -v53
	v_add_f32_e32 v45, v34, v45
	v_mul_f32_e32 v51, 0xbf763a35, v54
	v_add_f32_e32 v7, v7, v8
	v_fmamk_f32 v8, v44, 0x3dbcf732, v53
	v_add_f32_e32 v43, v43, v50
	v_add_f32_e32 v44, v26, v45
	v_fma_f32 v45, 0xbe8c1d8e, v46, -v51
	v_mul_f32_e32 v50, 0xbf4c4adb, v55
	v_add_f32_e32 v7, v7, v8
	v_fmamk_f32 v8, v46, 0xbe8c1d8e, v51
	v_add_f32_e32 v44, v40, v44
	v_add_f32_e32 v43, v43, v45
	v_fma_f32 v45, 0xbf1a4643, v47, -v50
	v_mul_f32_e32 v46, 0xbf06c442, v56
	v_add_f32_e32 v7, v7, v8
	v_add_f32_e32 v8, v36, v44
	v_fmamk_f32 v44, v47, 0xbf1a4643, v50
	v_add_f32_e32 v43, v43, v45
	v_fma_f32 v45, 0xbf59a7d5, v48, -v46
	v_mul_f32_e32 v47, 0xbe3c28d5, v57
	v_add_f32_e32 v8, v30, v8
	v_add_f32_e32 v7, v7, v44
	v_fmamk_f32 v44, v48, 0xbf59a7d5, v46
	v_add_f32_e32 v43, v43, v45
	v_fma_f32 v45, 0xbf7ba420, v49, -v47
	v_add_f32_e32 v8, v28, v8
	v_mul_u32_u24_e32 v46, 0x44, v0
	v_add_f32_e32 v7, v7, v44
	v_fmamk_f32 v44, v49, 0xbf7ba420, v47
	v_add_f32_e32 v43, v43, v45
	v_add_f32_e32 v8, v24, v8
	v_add3_u32 v45, 0, v46, v5
	v_add_f32_e32 v46, v70, v74
	v_add_f32_e32 v47, v64, v73
	;; [unrolled: 1-line block ×4, first 2 shown]
	ds_write2_b32 v45, v8, v43 offset1:1
	ds_write2_b32 v45, v46, v65 offset0:2 offset1:3
	ds_write2_b32 v45, v63, v61 offset0:4 offset1:5
	;; [unrolled: 1-line block ×7, first 2 shown]
	ds_write_b32 v45, v7 offset:64
.LBB0_13:
	s_or_b32 exec_lo, exec_lo, s1
	v_sub_f32_e32 v66, v20, v24
	v_add_f32_e32 v64, v21, v25
	v_sub_f32_e32 v62, v18, v28
	v_add_f32_e32 v61, v19, v29
	v_sub_f32_e32 v59, v10, v30
	v_mul_f32_e32 v65, 0xbf4c4adb, v66
	v_add_f32_e32 v58, v11, v31
	v_mul_f32_e32 v63, 0x3f763a35, v62
	v_sub_f32_e32 v56, v22, v36
	v_mul_f32_e32 v60, 0xbeb8f4ab, v59
	v_fma_f32 v7, 0xbf1a4643, v64, -v65
	v_add_f32_e32 v55, v23, v37
	v_fma_f32 v8, 0xbe8c1d8e, v61, -v63
	v_sub_f32_e32 v53, v16, v40
	v_fma_f32 v10, 0x3f6eb680, v58, -v60
	v_add_f32_e32 v7, v9, v7
	v_mul_f32_e32 v57, 0xbf06c442, v56
	v_add_f32_e32 v52, v17, v41
	v_mul_f32_e32 v54, 0x3f7ee86f, v53
	v_sub_f32_e32 v40, v14, v26
	v_add_f32_e32 v7, v7, v8
	v_fma_f32 v8, 0xbf59a7d5, v55, -v57
	v_sub_f32_e32 v30, v12, v34
	v_fma_f32 v12, 0x3dbcf732, v52, -v54
	v_add_f32_e32 v36, v15, v27
	v_add_f32_e32 v7, v7, v10
	v_lshlrev_b32_e32 v10, 2, v0
	v_sub_f32_e32 v20, v32, v38
	v_mul_f32_e32 v38, 0xbf2c7751, v40
	s_waitcnt lgkmcnt(0)
	v_add_f32_e32 v7, v7, v8
	v_add_nc_u32_e32 v18, 0, v10
	v_add3_u32 v28, 0, v5, v10
	s_barrier
	buffer_gl0_inv
	v_add_f32_e32 v67, v7, v12
	v_add_nc_u32_e32 v26, v18, v5
	ds_read_b32 v7, v28
	v_add_f32_e32 v24, v13, v35
	v_mul_f32_e32 v34, 0xbe3c28d5, v30
	v_fma_f32 v8, 0x3f3d2fb0, v36, -v38
	v_add_nc_u32_e32 v16, 0x400, v26
	v_add_nc_u32_e32 v12, 0x600, v26
	;; [unrolled: 1-line block ×4, first 2 shown]
	ds_read2_b32 v[50:51], v26 offset0:102 offset1:204
	ds_read2_b32 v[48:49], v16 offset0:50 offset1:152
	;; [unrolled: 1-line block ×5, first 2 shown]
	v_add_f32_e32 v22, v33, v39
	v_mul_f32_e32 v32, 0x3f65296c, v20
	v_fma_f32 v68, 0xbf7ba420, v24, -v34
	v_add_f32_e32 v8, v67, v8
	s_waitcnt lgkmcnt(0)
	s_barrier
	v_fma_f32 v67, 0x3ee437d1, v22, -v32
	buffer_gl0_inv
	v_add_f32_e32 v8, v8, v68
	v_add_f32_e32 v8, v8, v67
	s_and_saveexec_b32 s1, s0
	s_cbranch_execz .LBB0_15
; %bb.14:
	v_add_f32_e32 v21, v9, v21
	v_mul_f32_e32 v74, 0xbf2c7751, v66
	v_mul_f32_e32 v67, 0xbf1a4643, v64
	;; [unrolled: 1-line block ×4, first 2 shown]
	v_add_f32_e32 v21, v21, v19
	v_mul_f32_e32 v77, 0xbf06c442, v66
	v_mul_f32_e32 v78, 0xbf2c7751, v62
	v_fmamk_f32 v82, v64, 0x3f3d2fb0, v74
	v_fma_f32 v74, 0x3f3d2fb0, v64, -v74
	v_add_f32_e32 v11, v21, v11
	v_mul_f32_e32 v21, 0xbeb8f4ab, v66
	v_mul_f32_e32 v80, 0xbe3c28d5, v62
	;; [unrolled: 1-line block ×3, first 2 shown]
	v_fmamk_f32 v83, v64, 0x3dbcf732, v76
	v_add_f32_e32 v11, v11, v23
	v_mul_f32_e32 v23, 0xbf763a35, v66
	v_mul_f32_e32 v66, 0xbe3c28d5, v66
	v_fma_f32 v76, 0x3dbcf732, v64, -v76
	v_mul_f32_e32 v68, 0xbe8c1d8e, v61
	v_add_f32_e32 v11, v11, v17
	v_mul_f32_e32 v17, 0xbf7ee86f, v62
	v_mul_f32_e32 v79, 0xbf4c4adb, v62
	;; [unrolled: 1-line block ×4, first 2 shown]
	v_add_f32_e32 v11, v11, v15
	v_fmamk_f32 v15, v64, 0x3f6eb680, v21
	v_fma_f32 v21, 0x3f6eb680, v64, -v21
	v_fmamk_f32 v84, v61, 0xbf1a4643, v79
	v_add_f32_e32 v60, v69, v60
	v_add_f32_e32 v11, v11, v13
	v_fmamk_f32 v13, v64, 0x3ee437d1, v75
	v_fma_f32 v75, 0x3ee437d1, v64, -v75
	v_add_f32_e32 v21, v9, v21
	v_add_f32_e32 v15, v9, v15
	;; [unrolled: 1-line block ×4, first 2 shown]
	v_fmamk_f32 v65, v64, 0xbe8c1d8e, v23
	v_fma_f32 v23, 0xbe8c1d8e, v64, -v23
	v_fmamk_f32 v67, v64, 0xbf59a7d5, v77
	v_add_f32_e32 v11, v11, v39
	v_fma_f32 v39, 0xbf59a7d5, v64, -v77
	v_fmamk_f32 v77, v64, 0xbf7ba420, v66
	v_fma_f32 v64, 0xbf7ba420, v64, -v66
	v_fmamk_f32 v66, v61, 0x3f3d2fb0, v78
	v_add_f32_e32 v11, v35, v11
	v_fma_f32 v35, 0x3f3d2fb0, v61, -v78
	v_fmamk_f32 v78, v61, 0x3dbcf732, v17
	v_fma_f32 v17, 0x3dbcf732, v61, -v17
	v_add_f32_e32 v65, v9, v65
	v_add_f32_e32 v11, v27, v11
	v_add_f32_e32 v21, v21, v35
	v_fma_f32 v35, 0xbf7ba420, v61, -v80
	v_fma_f32 v27, 0xbf1a4643, v61, -v79
	v_add_f32_e32 v79, v9, v82
	v_add_f32_e32 v11, v41, v11
	v_add_f32_e32 v41, v9, v74
	v_add_f32_e32 v13, v9, v13
	v_add_f32_e32 v74, v9, v75
	v_add_f32_e32 v75, v9, v83
	v_add_f32_e32 v11, v37, v11
	v_add_f32_e32 v37, v9, v76
	v_add_f32_e32 v17, v41, v17
	v_fmamk_f32 v41, v61, 0xbf59a7d5, v81
	v_add_f32_e32 v23, v9, v23
	v_add_f32_e32 v33, v9, v33
	;; [unrolled: 1-line block ×7, first 2 shown]
	v_mul_f32_e32 v64, 0x3f65296c, v62
	v_add_f32_e32 v35, v37, v35
	v_add_f32_e32 v37, v65, v41
	;; [unrolled: 1-line block ×4, first 2 shown]
	v_fmamk_f32 v63, v61, 0x3ee437d1, v64
	v_mul_f32_e32 v62, 0x3eb8f4ab, v62
	v_fma_f32 v64, 0x3ee437d1, v61, -v64
	v_add_f32_e32 v33, v33, v41
	v_mul_f32_e32 v41, 0xbf65296c, v59
	v_add_f32_e32 v15, v15, v66
	v_add_f32_e32 v11, v25, v11
	v_fmamk_f32 v25, v61, 0xbf7ba420, v80
	v_fma_f32 v66, 0xbf59a7d5, v61, -v81
	v_add_f32_e32 v31, v31, v63
	v_fmamk_f32 v63, v61, 0x3f6eb680, v62
	v_add_f32_e32 v39, v39, v64
	v_fma_f32 v61, 0x3f6eb680, v61, -v62
	v_mul_f32_e32 v62, 0xbf4c4adb, v59
	v_fmamk_f32 v64, v58, 0x3ee437d1, v41
	v_fma_f32 v41, 0x3ee437d1, v58, -v41
	v_add_f32_e32 v29, v79, v78
	v_add_f32_e32 v9, v9, v61
	v_fmamk_f32 v61, v58, 0xbf1a4643, v62
	v_add_f32_e32 v15, v15, v64
	v_mul_f32_e32 v64, 0x3e3c28d5, v59
	v_add_f32_e32 v21, v21, v41
	v_fma_f32 v41, 0xbf1a4643, v58, -v62
	v_add_f32_e32 v13, v13, v84
	v_add_f32_e32 v27, v74, v27
	;; [unrolled: 1-line block ×3, first 2 shown]
	v_mul_f32_e32 v61, 0x3f763a35, v59
	v_fmamk_f32 v62, v58, 0xbf7ba420, v64
	v_fma_f32 v64, 0xbf7ba420, v58, -v64
	v_add_f32_e32 v17, v17, v41
	v_mul_f32_e32 v41, 0x3f2c7751, v59
	v_add_f32_e32 v23, v23, v66
	v_fmamk_f32 v65, v58, 0xbe8c1d8e, v61
	v_add_f32_e32 v13, v13, v62
	v_add_f32_e32 v27, v27, v64
	v_fma_f32 v61, 0xbe8c1d8e, v58, -v61
	v_fmamk_f32 v62, v58, 0x3f3d2fb0, v41
	v_mul_f32_e32 v64, 0xbf7ee86f, v59
	v_fma_f32 v41, 0x3f3d2fb0, v58, -v41
	v_add_f32_e32 v33, v33, v60
	v_add_f32_e32 v35, v35, v61
	v_mul_f32_e32 v60, 0xbf7ee86f, v56
	v_fmamk_f32 v61, v58, 0x3dbcf732, v64
	v_add_f32_e32 v23, v23, v41
	v_mul_f32_e32 v41, 0xbf06c442, v59
	v_fma_f32 v59, 0x3dbcf732, v58, -v64
	v_add_f32_e32 v37, v37, v62
	v_add_f32_e32 v31, v31, v61
	v_mul_f32_e32 v71, 0x3dbcf732, v52
	v_fmamk_f32 v61, v58, 0xbf59a7d5, v41
	v_fma_f32 v41, 0xbf59a7d5, v58, -v41
	v_mul_f32_e32 v58, 0xbe3c28d5, v56
	v_add_f32_e32 v39, v39, v59
	v_fmamk_f32 v59, v55, 0x3dbcf732, v60
	v_fma_f32 v60, 0x3dbcf732, v55, -v60
	v_add_f32_e32 v9, v9, v41
	v_fmamk_f32 v41, v55, 0xbf7ba420, v58
	v_fma_f32 v58, 0xbf7ba420, v55, -v58
	v_add_f32_e32 v15, v15, v59
	v_mul_f32_e32 v59, 0x3f763a35, v56
	v_add_f32_e32 v21, v21, v60
	v_add_f32_e32 v29, v29, v41
	v_mul_f32_e32 v41, 0x3eb8f4ab, v56
	v_add_f32_e32 v17, v17, v58
	v_fmamk_f32 v60, v55, 0xbe8c1d8e, v59
	v_fma_f32 v59, 0xbe8c1d8e, v55, -v59
	v_mul_f32_e32 v58, 0xbf65296c, v56
	v_fmamk_f32 v62, v55, 0x3f6eb680, v41
	v_fma_f32 v41, 0x3f6eb680, v55, -v41
	v_add_f32_e32 v13, v13, v60
	v_add_f32_e32 v27, v27, v59
	v_fmamk_f32 v59, v55, 0x3ee437d1, v58
	v_mul_f32_e32 v60, 0x3f4c4adb, v56
	v_fma_f32 v58, 0x3ee437d1, v55, -v58
	v_add_f32_e32 v35, v35, v41
	v_add_f32_e32 v41, v70, v57
	v_mul_f32_e32 v56, 0x3f2c7751, v56
	v_fmamk_f32 v57, v55, 0xbf1a4643, v60
	v_add_f32_e32 v23, v23, v58
	v_fma_f32 v58, 0xbf1a4643, v55, -v60
	v_add_f32_e32 v33, v33, v41
	v_mul_f32_e32 v41, 0xbf763a35, v53
	v_add_f32_e32 v31, v31, v57
	v_fmamk_f32 v57, v55, 0x3f3d2fb0, v56
	v_add_f32_e32 v39, v39, v58
	v_fma_f32 v55, 0x3f3d2fb0, v55, -v56
	v_mul_f32_e32 v56, 0x3f06c442, v53
	v_fmamk_f32 v58, v52, 0xbe8c1d8e, v41
	v_fma_f32 v41, 0xbe8c1d8e, v52, -v41
	v_add_f32_e32 v37, v37, v59
	v_add_f32_e32 v9, v9, v55
	v_fmamk_f32 v55, v52, 0xbf59a7d5, v56
	v_add_f32_e32 v15, v15, v58
	v_mul_f32_e32 v58, 0x3f2c7751, v53
	v_add_f32_e32 v21, v21, v41
	v_fma_f32 v41, 0xbf59a7d5, v52, -v56
	v_add_f32_e32 v29, v29, v55
	v_mul_f32_e32 v55, 0xbf65296c, v53
	v_fmamk_f32 v56, v52, 0x3f3d2fb0, v58
	v_fma_f32 v58, 0x3f3d2fb0, v52, -v58
	v_add_f32_e32 v17, v17, v41
	v_mul_f32_e32 v41, 0xbe3c28d5, v53
	v_fmamk_f32 v59, v52, 0x3ee437d1, v55
	v_add_f32_e32 v13, v13, v56
	v_add_f32_e32 v27, v27, v58
	v_fma_f32 v55, 0x3ee437d1, v52, -v55
	v_fmamk_f32 v56, v52, 0xbf7ba420, v41
	v_mul_f32_e32 v58, 0xbeb8f4ab, v53
	v_fma_f32 v41, 0xbf7ba420, v52, -v41
	v_add_f32_e32 v54, v71, v54
	v_add_f32_e32 v35, v35, v55
	v_mul_f32_e32 v72, 0x3f3d2fb0, v36
	v_fmamk_f32 v55, v52, 0x3f6eb680, v58
	v_add_f32_e32 v23, v23, v41
	v_mul_f32_e32 v41, 0xbf4c4adb, v53
	v_fma_f32 v53, 0x3f6eb680, v52, -v58
	v_add_f32_e32 v33, v33, v54
	v_mul_f32_e32 v54, 0xbf4c4adb, v40
	v_add_f32_e32 v31, v31, v55
	v_fmamk_f32 v55, v52, 0xbf1a4643, v41
	v_add_f32_e32 v39, v39, v53
	v_fma_f32 v41, 0xbf1a4643, v52, -v41
	v_mul_f32_e32 v52, 0x3f763a35, v40
	v_fmamk_f32 v53, v36, 0xbf1a4643, v54
	v_fma_f32 v54, 0xbf1a4643, v36, -v54
	v_add_f32_e32 v25, v75, v25
	v_add_f32_e32 v9, v9, v41
	v_fmamk_f32 v41, v36, 0xbe8c1d8e, v52
	v_add_f32_e32 v15, v15, v53
	v_mul_f32_e32 v53, 0xbeb8f4ab, v40
	v_fma_f32 v52, 0xbe8c1d8e, v36, -v52
	v_add_f32_e32 v21, v21, v54
	v_add_f32_e32 v29, v29, v41
	v_mul_f32_e32 v41, 0xbf06c442, v40
	v_fmamk_f32 v54, v36, 0x3f6eb680, v53
	v_fma_f32 v53, 0x3f6eb680, v36, -v53
	v_add_f32_e32 v17, v17, v52
	v_mul_f32_e32 v52, 0x3f7ee86f, v40
	v_add_f32_e32 v37, v37, v56
	v_fmamk_f32 v56, v36, 0xbf59a7d5, v41
	v_add_f32_e32 v13, v13, v54
	v_add_f32_e32 v27, v27, v53
	v_fma_f32 v41, 0xbf59a7d5, v36, -v41
	v_fmamk_f32 v53, v36, 0x3dbcf732, v52
	v_fma_f32 v52, 0x3dbcf732, v36, -v52
	v_mul_f32_e32 v54, 0xbe3c28d5, v40
	v_add_f32_e32 v38, v72, v38
	v_add_f32_e32 v25, v25, v65
	;; [unrolled: 1-line block ×4, first 2 shown]
	v_fmamk_f32 v41, v36, 0xbf7ba420, v54
	v_mul_f32_e32 v40, 0x3f65296c, v40
	v_fma_f32 v52, 0xbf7ba420, v36, -v54
	v_add_f32_e32 v33, v33, v38
	v_mul_f32_e32 v38, 0xbf06c442, v30
	v_add_f32_e32 v25, v25, v62
	v_add_f32_e32 v31, v31, v41
	v_fmamk_f32 v41, v36, 0x3ee437d1, v40
	v_add_f32_e32 v39, v39, v52
	v_fma_f32 v36, 0x3ee437d1, v36, -v40
	v_fmamk_f32 v40, v24, 0xbf59a7d5, v38
	v_mul_f32_e32 v52, 0x3f65296c, v30
	v_fma_f32 v38, 0xbf59a7d5, v24, -v38
	v_add_f32_e32 v25, v25, v59
	v_add_f32_e32 v9, v9, v36
	;; [unrolled: 1-line block ×3, first 2 shown]
	v_fmamk_f32 v36, v24, 0x3ee437d1, v52
	v_mul_f32_e32 v40, 0xbf7ee86f, v30
	v_add_f32_e32 v21, v21, v38
	v_fma_f32 v38, 0x3ee437d1, v24, -v52
	v_mul_f32_e32 v52, 0x3f4c4adb, v30
	v_add_f32_e32 v25, v25, v56
	v_add_f32_e32 v37, v37, v53
	;; [unrolled: 1-line block ×3, first 2 shown]
	v_fmamk_f32 v36, v24, 0x3dbcf732, v40
	v_fma_f32 v40, 0x3dbcf732, v24, -v40
	v_add_f32_e32 v17, v17, v38
	v_fmamk_f32 v38, v24, 0xbf1a4643, v52
	v_mul_f32_e32 v53, 0xbeb8f4ab, v30
	v_mul_f32_e32 v73, 0xbf7ba420, v24
	v_add_f32_e32 v13, v13, v36
	v_add_f32_e32 v27, v27, v40
	v_fma_f32 v36, 0xbf1a4643, v24, -v52
	v_add_f32_e32 v25, v25, v38
	v_fmamk_f32 v38, v24, 0x3f6eb680, v53
	v_mul_f32_e32 v40, 0x3f2c7751, v30
	v_add_f32_e32 v34, v73, v34
	v_add_f32_e32 v35, v35, v36
	v_mul_f32_e32 v30, 0xbf763a35, v30
	v_add_f32_e32 v36, v37, v38
	v_fmamk_f32 v37, v24, 0x3f3d2fb0, v40
	v_add_f32_e32 v33, v33, v34
	v_fma_f32 v34, 0x3f3d2fb0, v24, -v40
	v_fma_f32 v52, 0x3f6eb680, v24, -v53
	v_fmamk_f32 v38, v24, 0xbe8c1d8e, v30
	v_add_f32_e32 v31, v31, v37
	v_mul_f32_e32 v37, 0xbe3c28d5, v20
	v_fma_f32 v24, 0xbe8c1d8e, v24, -v30
	v_add_f32_e32 v30, v39, v34
	v_mul_f32_e32 v34, 0x3eb8f4ab, v20
	v_add_f32_e32 v63, v67, v63
	v_fmamk_f32 v39, v22, 0xbf7ba420, v37
	v_add_f32_e32 v9, v9, v24
	v_fma_f32 v24, 0xbf7ba420, v22, -v37
	v_fmamk_f32 v37, v22, 0x3f6eb680, v34
	v_fma_f32 v34, 0x3f6eb680, v22, -v34
	v_add_f32_e32 v15, v15, v39
	v_mul_f32_e32 v39, 0xbf06c442, v20
	v_add_f32_e32 v61, v63, v61
	v_add_f32_e32 v21, v21, v24
	;; [unrolled: 1-line block ×4, first 2 shown]
	v_fmamk_f32 v37, v22, 0xbf59a7d5, v39
	v_fma_f32 v34, 0xbf59a7d5, v22, -v39
	v_mul_f32_e32 v39, 0xbf4c4adb, v20
	v_add_f32_e32 v57, v61, v57
	v_mul_f32_e32 v19, 0x3ee437d1, v22
	v_mul_f32_e32 v29, 0x3f2c7751, v20
	v_add_f32_e32 v27, v27, v34
	v_fmamk_f32 v34, v22, 0xbf1a4643, v39
	v_add_f32_e32 v55, v57, v55
	v_add_f32_e32 v19, v19, v32
	v_fmamk_f32 v40, v22, 0x3f3d2fb0, v29
	v_fma_f32 v29, 0x3f3d2fb0, v22, -v29
	v_add_f32_e32 v32, v36, v34
	v_mul_f32_e32 v34, 0xbf763a35, v20
	v_add_f32_e32 v41, v55, v41
	v_mul_f32_e32 v20, 0x3f7ee86f, v20
	v_add_f32_e32 v19, v33, v19
	v_lshlrev_b32_e32 v33, 6, v0
	v_add_f32_e32 v29, v35, v29
	v_fmamk_f32 v35, v22, 0xbe8c1d8e, v34
	v_add_f32_e32 v38, v41, v38
	v_fmamk_f32 v36, v22, 0x3dbcf732, v20
	v_fma_f32 v20, 0x3dbcf732, v22, -v20
	v_add_f32_e32 v23, v23, v52
	v_add_f32_e32 v13, v13, v37
	v_fma_f32 v37, 0xbf1a4643, v22, -v39
	v_fma_f32 v34, 0xbe8c1d8e, v22, -v34
	v_add3_u32 v18, v18, v33, v5
	v_add_f32_e32 v25, v25, v40
	v_add_f32_e32 v22, v31, v35
	;; [unrolled: 1-line block ×6, first 2 shown]
	ds_write2_b32 v18, v11, v15 offset1:1
	ds_write2_b32 v18, v24, v13 offset0:2 offset1:3
	ds_write2_b32 v18, v25, v32 offset0:4 offset1:5
	;; [unrolled: 1-line block ×7, first 2 shown]
	ds_write_b32 v18, v21 offset:64
.LBB0_15:
	s_or_b32 exec_lo, exec_lo, s1
	v_and_b32_e32 v9, 0xff, v0
	v_mov_b32_e32 v13, 10
	s_load_dwordx2 s[4:5], s[4:5], 0x0
	s_waitcnt lgkmcnt(0)
	s_barrier
	v_mul_lo_u16 v9, 0xf1, v9
	buffer_gl0_inv
	v_add_nc_u32_e32 v23, 0x800, v26
	v_cmp_gt_u32_e64 s0, 0x55, v0
	v_lshrrev_b16 v9, 12, v9
	v_mul_lo_u16 v11, v9, 17
	v_and_b32_e32 v9, 0xffff, v9
	v_sub_nc_u16 v21, v0, v11
	v_mad_u32_u24 v22, 0x2ec, v9, 0
	v_mul_u32_u24_sdwa v11, v21, v13 dst_sel:DWORD dst_unused:UNUSED_PAD src0_sel:BYTE_0 src1_sel:DWORD
	v_mov_b32_e32 v13, 2
	v_lshlrev_b32_e32 v11, 3, v11
	v_lshlrev_b32_sdwa v13, v13, v21 dst_sel:DWORD dst_unused:UNUSED_PAD src0_sel:DWORD src1_sel:BYTE_0
	v_add_nc_u32_e32 v21, 0x200, v26
	s_clause 0x4
	global_load_dwordx4 v[17:20], v11, s[8:9]
	global_load_dwordx4 v[52:55], v11, s[8:9] offset:16
	global_load_dwordx4 v[56:59], v11, s[8:9] offset:32
	;; [unrolled: 1-line block ×4, first 2 shown]
	ds_read2_b32 v[30:31], v26 offset0:102 offset1:204
	ds_read2_b32 v[15:16], v16 offset0:50 offset1:152
	;; [unrolled: 1-line block ×3, first 2 shown]
	ds_read_b32 v32, v28
	ds_read2_b32 v[9:10], v10 offset0:74 offset1:176
	ds_read2_b32 v[68:69], v14 offset0:150 offset1:252
	v_add3_u32 v22, v22, v13, v5
	s_waitcnt vmcnt(0) lgkmcnt(0)
	s_barrier
	buffer_gl0_inv
	v_mul_f32_e32 v5, v30, v18
	v_mul_f32_e32 v41, v50, v18
	v_mul_f32_e32 v18, v31, v20
	v_mul_f32_e32 v39, v51, v20
	v_mul_f32_e32 v37, v43, v67
	v_fma_f32 v50, v50, v17, -v5
	v_mul_f32_e32 v20, v15, v53
	v_mul_f32_e32 v33, v48, v53
	;; [unrolled: 1-line block ×10, first 2 shown]
	v_fmac_f32_e32 v41, v30, v17
	v_fma_f32 v40, v51, v19, -v18
	v_fmac_f32_e32 v37, v69, v66
	v_add_f32_e32 v5, v7, v50
	v_mul_f32_e32 v25, v16, v55
	v_mul_f32_e32 v27, v11, v57
	;; [unrolled: 1-line block ×5, first 2 shown]
	v_fmac_f32_e32 v39, v31, v19
	v_fma_f32 v35, v48, v52, -v20
	v_fmac_f32_e32 v33, v15, v52
	v_fmac_f32_e32 v24, v16, v54
	;; [unrolled: 1-line block ×6, first 2 shown]
	v_fma_f32 v43, v43, v66, -v59
	v_fmac_f32_e32 v38, v68, v64
	v_sub_f32_e32 v10, v41, v37
	v_add_f32_e32 v5, v5, v40
	v_fma_f32 v30, v49, v54, -v25
	v_fma_f32 v15, v46, v56, -v27
	;; [unrolled: 1-line block ×6, first 2 shown]
	v_add_f32_e32 v9, v50, v43
	v_sub_f32_e32 v12, v39, v38
	v_sub_f32_e32 v18, v33, v34
	;; [unrolled: 1-line block ×4, first 2 shown]
	v_mul_f32_e32 v44, 0xbf0a6770, v10
	v_mul_f32_e32 v45, 0xbf68dda4, v10
	;; [unrolled: 1-line block ×5, first 2 shown]
	v_add_f32_e32 v5, v5, v35
	v_add_f32_e32 v11, v40, v42
	;; [unrolled: 1-line block ×5, first 2 shown]
	v_mul_f32_e32 v48, 0xbf68dda4, v12
	v_mul_f32_e32 v49, 0xbf4178ce, v12
	;; [unrolled: 1-line block ×20, first 2 shown]
	v_fma_f32 v65, 0x3f575c64, v9, -v44
	v_fmac_f32_e32 v44, 0x3f575c64, v9
	v_fma_f32 v66, 0x3ed4b147, v9, -v45
	v_fmac_f32_e32 v45, 0x3ed4b147, v9
	;; [unrolled: 2-line block ×5, first 2 shown]
	v_add_f32_e32 v5, v5, v30
	v_fma_f32 v9, 0x3ed4b147, v11, -v48
	v_fmac_f32_e32 v48, 0x3ed4b147, v11
	v_fma_f32 v70, 0xbf27a4f4, v11, -v49
	v_fmac_f32_e32 v49, 0xbf27a4f4, v11
	;; [unrolled: 2-line block ×20, first 2 shown]
	v_add_f32_e32 v25, v7, v65
	v_add_f32_e32 v44, v7, v44
	;; [unrolled: 1-line block ×56, first 2 shown]
	ds_write2_b32 v22, v46, v17 offset0:34 offset1:51
	ds_write2_b32 v22, v25, v44 offset0:68 offset1:85
	;; [unrolled: 1-line block ×4, first 2 shown]
	ds_write_b32 v22, v5 offset:680
	ds_write2_b32 v22, v7, v19 offset1:17
	s_waitcnt lgkmcnt(0)
	s_barrier
	buffer_gl0_inv
	ds_read2_b32 v[17:18], v21 offset0:59 offset1:246
	ds_read2_b32 v[19:20], v23 offset0:49 offset1:236
	ds_read_b32 v25, v28
	ds_read_b32 v27, v26 offset:3740
	s_and_saveexec_b32 s1, s0
	s_cbranch_execz .LBB0_17
; %bb.16:
	v_add_nc_u32_e32 v5, 0x100, v26
	v_add_nc_u32_e32 v6, 0x700, v26
	;; [unrolled: 1-line block ×3, first 2 shown]
	ds_read2_b32 v[9:10], v5 offset0:38 offset1:225
	ds_read2_b32 v[11:12], v6 offset0:28 offset1:215
	;; [unrolled: 1-line block ×3, first 2 shown]
.LBB0_17:
	s_or_b32 exec_lo, exec_lo, s1
	v_add_f32_e32 v7, v32, v41
	v_sub_f32_e32 v43, v50, v43
	v_add_f32_e32 v41, v41, v37
	v_sub_f32_e32 v40, v40, v42
	v_add_f32_e32 v44, v39, v38
	v_add_f32_e32 v7, v7, v39
	v_mul_f32_e32 v42, 0xbf68dda4, v43
	v_mul_f32_e32 v45, 0xbf7d64f0, v43
	;; [unrolled: 1-line block ×4, first 2 shown]
	v_add_f32_e32 v7, v7, v33
	v_fmamk_f32 v51, v41, 0x3ed4b147, v42
	v_fma_f32 v42, 0x3ed4b147, v41, -v42
	v_mul_f32_e32 v46, 0xbf4178ce, v43
	v_mul_f32_e32 v43, 0xbe903f40, v43
	v_add_f32_e32 v7, v7, v24
	v_mul_f32_e32 v49, 0x3e903f40, v40
	v_fmamk_f32 v52, v41, 0xbe11bafb, v45
	v_fma_f32 v45, 0xbe11bafb, v41, -v45
	v_add_f32_e32 v42, v32, v42
	v_add_f32_e32 v7, v7, v13
	v_mul_f32_e32 v47, 0xbf68dda4, v40
	v_fmamk_f32 v50, v41, 0x3f575c64, v39
	v_fmamk_f32 v53, v41, 0xbf27a4f4, v46
	v_fma_f32 v46, 0xbf27a4f4, v41, -v46
	v_add_f32_e32 v7, v7, v14
	v_fmamk_f32 v54, v41, 0xbf75a155, v43
	v_fmamk_f32 v55, v44, 0xbf27a4f4, v48
	v_add_f32_e32 v45, v32, v45
	v_sub_f32_e32 v35, v35, v36
	v_add_f32_e32 v7, v7, v29
	v_fma_f32 v39, 0x3f575c64, v41, -v39
	v_fma_f32 v41, 0xbf75a155, v41, -v43
	v_fmamk_f32 v43, v44, 0x3ed4b147, v47
	v_add_f32_e32 v50, v32, v50
	v_add_f32_e32 v7, v7, v34
	;; [unrolled: 1-line block ×3, first 2 shown]
	v_mul_f32_e32 v34, 0xbf7d64f0, v35
	v_fma_f32 v47, 0x3ed4b147, v44, -v47
	v_add_f32_e32 v39, v32, v39
	v_add_f32_e32 v7, v7, v38
	;; [unrolled: 1-line block ×7, first 2 shown]
	v_fma_f32 v7, 0xbf27a4f4, v44, -v48
	v_fma_f32 v48, 0xbf75a155, v44, -v49
	v_add_f32_e32 v53, v32, v53
	v_add_f32_e32 v32, v32, v41
	;; [unrolled: 1-line block ×4, first 2 shown]
	v_mul_f32_e32 v42, 0x3f7d64f0, v40
	v_mul_f32_e32 v40, 0x3f0a6770, v40
	v_add_f32_e32 v45, v48, v45
	v_fmamk_f32 v43, v44, 0xbf75a155, v49
	v_add_f32_e32 v39, v47, v39
	v_fmamk_f32 v36, v44, 0xbe11bafb, v42
	v_fma_f32 v42, 0xbe11bafb, v44, -v42
	v_fmamk_f32 v48, v44, 0x3f575c64, v40
	v_fma_f32 v40, 0x3f575c64, v44, -v40
	;; [unrolled: 2-line block ×3, first 2 shown]
	v_add_f32_e32 v38, v42, v38
	v_add_f32_e32 v42, v48, v46
	v_mul_f32_e32 v46, 0x3e903f40, v35
	v_add_f32_e32 v32, v40, v32
	v_mul_f32_e32 v40, 0x3f68dda4, v35
	v_add_f32_e32 v41, v44, v41
	v_add_f32_e32 v43, v43, v52
	v_fmamk_f32 v44, v33, 0xbf75a155, v46
	v_fma_f32 v46, 0xbf75a155, v33, -v46
	v_add_f32_e32 v34, v34, v39
	v_fmamk_f32 v39, v33, 0x3ed4b147, v40
	v_fma_f32 v40, 0x3ed4b147, v33, -v40
	v_sub_f32_e32 v30, v30, v31
	v_add_f32_e32 v7, v46, v7
	v_mul_f32_e32 v46, 0xbf0a6770, v35
	v_mul_f32_e32 v31, 0xbf4178ce, v35
	v_add_f32_e32 v36, v36, v53
	v_add_f32_e32 v39, v39, v43
	;; [unrolled: 1-line block ×3, first 2 shown]
	v_fmamk_f32 v35, v33, 0x3f575c64, v46
	v_fma_f32 v43, 0x3f575c64, v33, -v46
	v_add_f32_e32 v24, v24, v29
	v_mul_f32_e32 v29, 0xbf4178ce, v30
	v_fmamk_f32 v45, v33, 0xbf27a4f4, v31
	v_add_f32_e32 v35, v35, v36
	v_add_f32_e32 v36, v43, v38
	v_fma_f32 v31, 0xbf27a4f4, v33, -v31
	v_fmamk_f32 v33, v24, 0xbf27a4f4, v29
	v_add_f32_e32 v38, v45, v42
	v_mul_f32_e32 v42, 0x3f7d64f0, v30
	v_fma_f32 v29, 0xbf27a4f4, v24, -v29
	v_add_f32_e32 v31, v31, v32
	v_add_f32_e32 v32, v33, v41
	;; [unrolled: 1-line block ×3, first 2 shown]
	v_fmamk_f32 v41, v24, 0xbe11bafb, v42
	v_add_f32_e32 v29, v29, v34
	v_fma_f32 v34, 0xbe11bafb, v24, -v42
	v_mul_f32_e32 v42, 0xbe903f40, v30
	v_mul_f32_e32 v33, 0xbf0a6770, v30
	;; [unrolled: 1-line block ×3, first 2 shown]
	v_sub_f32_e32 v15, v15, v16
	v_add_f32_e32 v34, v34, v7
	v_fmamk_f32 v7, v24, 0xbf75a155, v42
	v_add_f32_e32 v44, v44, v47
	v_fmamk_f32 v43, v24, 0x3f575c64, v33
	v_fma_f32 v33, 0x3f575c64, v24, -v33
	v_fmamk_f32 v16, v24, 0x3ed4b147, v30
	v_add_f32_e32 v35, v7, v35
	v_fma_f32 v7, 0xbf75a155, v24, -v42
	v_add_f32_e32 v13, v13, v14
	v_mul_f32_e32 v14, 0xbe903f40, v15
	v_fma_f32 v24, 0x3ed4b147, v24, -v30
	v_add_f32_e32 v41, v41, v44
	v_add_f32_e32 v30, v7, v36
	v_mul_f32_e32 v7, 0x3f0a6770, v15
	v_add_f32_e32 v36, v16, v38
	v_fmamk_f32 v16, v13, 0xbf75a155, v14
	v_add_f32_e32 v24, v24, v31
	v_fma_f32 v14, 0xbf75a155, v13, -v14
	v_mul_f32_e32 v31, 0xbf4178ce, v15
	v_fmamk_f32 v38, v13, 0x3f575c64, v7
	v_add_f32_e32 v39, v43, v39
	v_add_f32_e32 v32, v16, v32
	v_fma_f32 v16, 0x3f575c64, v13, -v7
	v_add_f32_e32 v7, v14, v29
	v_fmamk_f32 v14, v13, 0xbf27a4f4, v31
	v_add_f32_e32 v29, v38, v41
	v_mul_f32_e32 v38, 0x3f68dda4, v15
	v_mul_f32_e32 v15, 0xbf7d64f0, v15
	v_add_f32_e32 v33, v33, v40
	v_add_f32_e32 v16, v16, v34
	;; [unrolled: 1-line block ×3, first 2 shown]
	v_fma_f32 v14, 0xbf27a4f4, v13, -v31
	v_fmamk_f32 v31, v13, 0x3ed4b147, v38
	v_fma_f32 v38, 0x3ed4b147, v13, -v38
	v_fmamk_f32 v39, v13, 0xbe11bafb, v15
	v_fma_f32 v13, 0xbe11bafb, v13, -v15
	v_add_f32_e32 v15, v14, v33
	v_add_f32_e32 v31, v31, v35
	v_add_f32_e32 v14, v38, v30
	v_add_f32_e32 v30, v39, v36
	v_add_f32_e32 v13, v13, v24
	s_waitcnt lgkmcnt(0)
	s_barrier
	buffer_gl0_inv
	ds_write2_b32 v22, v37, v32 offset1:17
	ds_write2_b32 v22, v29, v34 offset0:34 offset1:51
	ds_write2_b32 v22, v31, v30 offset0:68 offset1:85
	;; [unrolled: 1-line block ×4, first 2 shown]
	ds_write_b32 v22, v7 offset:680
	s_waitcnt lgkmcnt(0)
	s_barrier
	buffer_gl0_inv
	ds_read2_b32 v[21:22], v21 offset0:59 offset1:246
	ds_read2_b32 v[23:24], v23 offset0:49 offset1:236
	ds_read_b32 v28, v28
	ds_read_b32 v29, v26 offset:3740
	s_and_saveexec_b32 s1, s0
	s_cbranch_execz .LBB0_19
; %bb.18:
	v_add_nc_u32_e32 v7, 0x100, v26
	v_add_nc_u32_e32 v8, 0x700, v26
	;; [unrolled: 1-line block ×3, first 2 shown]
	ds_read2_b32 v[13:14], v7 offset0:38 offset1:225
	ds_read2_b32 v[15:16], v8 offset0:28 offset1:215
	;; [unrolled: 1-line block ×3, first 2 shown]
.LBB0_19:
	s_or_b32 exec_lo, exec_lo, s1
	s_and_saveexec_b32 s1, vcc_lo
	s_cbranch_execz .LBB0_22
; %bb.20:
	v_mul_u32_u24_e32 v26, 5, v0
	v_mad_u64_u32 v[40:41], null, s2, v0, 0
	v_add_nc_u32_e32 v54, 0xbb, v0
	v_mul_lo_u32 v50, s5, v3
	v_lshlrev_b32_e32 v26, 3, v26
	v_mul_lo_u32 v51, s4, v4
	v_mad_u64_u32 v[3:4], null, s4, v3, 0
	v_add_nc_u32_e32 v55, 0x176, v0
	s_clause 0x2
	global_load_dwordx4 v[30:33], v26, s[8:9] offset:1360
	global_load_dwordx4 v[34:37], v26, s[8:9] offset:1376
	global_load_dwordx2 v[38:39], v26, s[8:9] offset:1392
	v_add_nc_u32_e32 v56, 0x231, v0
	v_add_nc_u32_e32 v57, 0x2ec, v0
	;; [unrolled: 1-line block ×3, first 2 shown]
	v_mad_u64_u32 v[42:43], null, s2, v54, 0
	v_mad_u64_u32 v[44:45], null, s2, v55, 0
	;; [unrolled: 1-line block ×4, first 2 shown]
	v_mov_b32_e32 v26, v41
	v_add3_u32 v4, v4, v51, v50
	v_mad_u64_u32 v[50:51], null, s2, v58, 0
	v_mov_b32_e32 v41, v45
	v_mad_u64_u32 v[52:53], null, s3, v0, v[26:27]
	v_mov_b32_e32 v26, v43
	v_mov_b32_e32 v43, v47
	;; [unrolled: 1-line block ×4, first 2 shown]
	v_lshlrev_b64 v[3:4], 3, v[3:4]
	v_mad_u64_u32 v[53:54], null, s3, v54, v[26:27]
	v_mad_u64_u32 v[54:55], null, s3, v55, v[41:42]
	v_mad_u64_u32 v[55:56], null, s3, v56, v[43:44]
	v_mad_u64_u32 v[56:57], null, s3, v57, v[45:46]
	v_mad_u64_u32 v[57:58], null, s3, v58, v[47:48]
	v_lshlrev_b64 v[1:2], 3, v[1:2]
	v_add_co_u32 v3, vcc_lo, s14, v3
	v_add_co_ci_u32_e32 v4, vcc_lo, s15, v4, vcc_lo
	v_mov_b32_e32 v41, v52
	v_mov_b32_e32 v43, v53
	v_mov_b32_e32 v45, v54
	v_mov_b32_e32 v47, v55
	v_mov_b32_e32 v49, v56
	v_mov_b32_e32 v51, v57
	v_add_co_u32 v1, vcc_lo, v3, v1
	v_add_co_ci_u32_e32 v2, vcc_lo, v4, v2, vcc_lo
	v_lshlrev_b64 v[3:4], 3, v[40:41]
	v_lshlrev_b64 v[40:41], 3, v[42:43]
	;; [unrolled: 1-line block ×6, first 2 shown]
	v_add_co_u32 v3, vcc_lo, v1, v3
	v_add_co_ci_u32_e32 v4, vcc_lo, v2, v4, vcc_lo
	v_add_co_u32 v40, vcc_lo, v1, v40
	v_add_co_ci_u32_e32 v41, vcc_lo, v2, v41, vcc_lo
	;; [unrolled: 2-line block ×6, first 2 shown]
	s_waitcnt vmcnt(2) lgkmcnt(3)
	v_mul_f32_e32 v26, v22, v33
	s_waitcnt vmcnt(1) lgkmcnt(2)
	v_mul_f32_e32 v50, v24, v37
	v_mul_f32_e32 v33, v18, v33
	;; [unrolled: 1-line block ×4, first 2 shown]
	s_waitcnt vmcnt(0) lgkmcnt(0)
	v_mul_f32_e32 v53, v29, v39
	v_mul_f32_e32 v35, v19, v35
	;; [unrolled: 1-line block ×5, first 2 shown]
	v_fmac_f32_e32 v33, v22, v32
	v_fmac_f32_e32 v37, v24, v36
	v_fma_f32 v19, v19, v34, -v52
	v_fma_f32 v22, v27, v38, -v53
	v_fmac_f32_e32 v35, v23, v34
	v_fmac_f32_e32 v39, v29, v38
	v_fma_f32 v18, v18, v32, -v26
	v_fma_f32 v20, v20, v36, -v50
	;; [unrolled: 1-line block ×3, first 2 shown]
	v_fmac_f32_e32 v31, v21, v30
	v_add_f32_e32 v23, v33, v37
	v_add_f32_e32 v24, v19, v22
	;; [unrolled: 1-line block ×3, first 2 shown]
	v_sub_f32_e32 v26, v35, v39
	v_sub_f32_e32 v27, v19, v22
	v_add_f32_e32 v30, v28, v33
	v_add_f32_e32 v32, v31, v35
	;; [unrolled: 1-line block ×3, first 2 shown]
	v_fma_f32 v23, -0.5, v23, v28
	v_fma_f32 v24, -0.5, v24, v17
	;; [unrolled: 1-line block ×3, first 2 shown]
	v_sub_f32_e32 v21, v18, v20
	v_add_f32_e32 v18, v25, v18
	v_add_f32_e32 v19, v17, v19
	;; [unrolled: 1-line block ×4, first 2 shown]
	v_fma_f32 v25, -0.5, v34, v25
	v_fmamk_f32 v32, v26, 0xbf5db3d7, v24
	v_fmamk_f32 v34, v27, 0x3f5db3d7, v28
	v_fmac_f32_e32 v28, 0xbf5db3d7, v27
	v_fmac_f32_e32 v24, 0x3f5db3d7, v26
	v_sub_f32_e32 v33, v33, v37
	v_add_f32_e32 v31, v18, v20
	v_add_f32_e32 v19, v19, v22
	v_fmamk_f32 v22, v21, 0x3f5db3d7, v23
	v_fmac_f32_e32 v23, 0xbf5db3d7, v21
	v_sub_f32_e32 v18, v29, v30
	v_add_f32_e32 v20, v29, v30
	v_mul_f32_e32 v21, -0.5, v34
	v_mul_f32_e32 v27, 0xbf5db3d7, v24
	v_mul_f32_e32 v29, 0x3f5db3d7, v28
	v_mul_f32_e32 v30, -0.5, v32
	v_fmamk_f32 v26, v33, 0xbf5db3d7, v25
	v_fmac_f32_e32 v25, 0x3f5db3d7, v33
	v_sub_f32_e32 v17, v31, v19
	v_add_f32_e32 v19, v31, v19
	v_fmac_f32_e32 v21, 0xbf5db3d7, v32
	v_fmac_f32_e32 v27, 0.5, v28
	v_fmac_f32_e32 v29, 0.5, v24
	v_fmac_f32_e32 v30, 0x3f5db3d7, v34
	global_store_dwordx2 v[3:4], v[19:20], off
	v_sub_f32_e32 v4, v22, v21
	v_add_f32_e32 v20, v22, v21
	v_add_f32_e32 v22, v23, v27
	;; [unrolled: 1-line block ×4, first 2 shown]
	v_sub_f32_e32 v24, v23, v27
	v_sub_f32_e32 v23, v25, v29
	;; [unrolled: 1-line block ×3, first 2 shown]
	global_store_dwordx2 v[40:41], v[21:22], off
	global_store_dwordx2 v[42:43], v[19:20], off
	;; [unrolled: 1-line block ×5, first 2 shown]
	s_and_b32 exec_lo, exec_lo, s0
	s_cbranch_execz .LBB0_22
; %bb.21:
	v_add_nc_u32_e32 v37, 0x66, v0
	v_add_nc_u32_e32 v3, 0xffffffab, v0
	v_mov_b32_e32 v4, 0
	v_add_nc_u32_e32 v38, 0x121, v0
	v_add_nc_u32_e32 v39, 0x1dc, v0
	;; [unrolled: 1-line block ×3, first 2 shown]
	v_cndmask_b32_e64 v3, v3, v37, s0
	v_add_nc_u32_e32 v41, 0x352, v0
	v_add_nc_u32_e32 v42, 0x40d, v0
	v_mad_u64_u32 v[25:26], null, s2, v37, 0
	v_mul_i32_i24_e32 v3, 5, v3
	v_mad_u64_u32 v[27:28], null, s2, v38, 0
	v_mad_u64_u32 v[29:30], null, s2, v39, 0
	v_lshlrev_b64 v[3:4], 3, v[3:4]
	v_mad_u64_u32 v[31:32], null, s2, v40, 0
	v_mad_u64_u32 v[33:34], null, s2, v41, 0
	;; [unrolled: 1-line block ×3, first 2 shown]
	v_add_co_u32 v3, vcc_lo, s8, v3
	v_add_co_ci_u32_e32 v4, vcc_lo, s9, v4, vcc_lo
	v_mov_b32_e32 v0, v26
	s_clause 0x2
	global_load_dwordx4 v[17:20], v[3:4], off offset:1360
	global_load_dwordx4 v[21:24], v[3:4], off offset:1376
	global_load_dwordx2 v[3:4], v[3:4], off offset:1392
	v_mov_b32_e32 v26, v28
	v_mov_b32_e32 v28, v30
	;; [unrolled: 1-line block ×5, first 2 shown]
	v_mad_u64_u32 v[36:37], null, s3, v37, v[0:1]
	v_mad_u64_u32 v[37:38], null, s3, v38, v[26:27]
	;; [unrolled: 1-line block ×4, first 2 shown]
	v_mov_b32_e32 v26, v36
	v_mad_u64_u32 v[40:41], null, s3, v41, v[32:33]
	v_mov_b32_e32 v28, v37
	v_mov_b32_e32 v30, v38
	v_lshlrev_b64 v[25:26], 3, v[25:26]
	v_mad_u64_u32 v[41:42], null, s3, v42, v[34:35]
	v_lshlrev_b64 v[27:28], 3, v[27:28]
	v_mov_b32_e32 v32, v39
	v_lshlrev_b64 v[29:30], 3, v[29:30]
	v_add_co_u32 v25, vcc_lo, v1, v25
	v_mov_b32_e32 v34, v40
	v_add_co_ci_u32_e32 v26, vcc_lo, v2, v26, vcc_lo
	v_lshlrev_b64 v[31:32], 3, v[31:32]
	v_add_co_u32 v27, vcc_lo, v1, v27
	v_mov_b32_e32 v36, v41
	v_add_co_ci_u32_e32 v28, vcc_lo, v2, v28, vcc_lo
	v_lshlrev_b64 v[33:34], 3, v[33:34]
	v_add_co_u32 v29, vcc_lo, v1, v29
	v_add_co_ci_u32_e32 v30, vcc_lo, v2, v30, vcc_lo
	v_lshlrev_b64 v[35:36], 3, v[35:36]
	v_add_co_u32 v31, vcc_lo, v1, v31
	v_add_co_ci_u32_e32 v32, vcc_lo, v2, v32, vcc_lo
	v_add_co_u32 v33, vcc_lo, v1, v33
	v_add_co_ci_u32_e32 v34, vcc_lo, v2, v34, vcc_lo
	;; [unrolled: 2-line block ×3, first 2 shown]
	s_waitcnt vmcnt(2)
	v_mul_f32_e32 v2, v14, v18
	v_mul_f32_e32 v35, v15, v20
	;; [unrolled: 1-line block ×3, first 2 shown]
	s_waitcnt vmcnt(1)
	v_mul_f32_e32 v36, v16, v22
	v_mul_f32_e32 v22, v12, v22
	;; [unrolled: 1-line block ×4, first 2 shown]
	s_waitcnt vmcnt(0)
	v_mul_f32_e32 v38, v8, v4
	v_mul_f32_e32 v4, v6, v4
	;; [unrolled: 1-line block ×3, first 2 shown]
	v_fma_f32 v10, v10, v17, -v2
	v_fma_f32 v2, v11, v19, -v35
	v_fmac_f32_e32 v20, v15, v19
	v_fma_f32 v11, v12, v21, -v36
	v_fmac_f32_e32 v22, v16, v21
	;; [unrolled: 2-line block ×4, first 2 shown]
	v_fmac_f32_e32 v18, v14, v17
	v_add_f32_e32 v7, v2, v5
	v_sub_f32_e32 v8, v20, v24
	v_add_f32_e32 v12, v13, v20
	v_add_f32_e32 v14, v20, v24
	;; [unrolled: 1-line block ×6, first 2 shown]
	v_sub_f32_e32 v17, v22, v4
	v_add_f32_e32 v19, v18, v22
	v_sub_f32_e32 v11, v11, v6
	v_fmac_f32_e32 v9, -0.5, v7
	v_fmac_f32_e32 v10, -0.5, v16
	;; [unrolled: 1-line block ×4, first 2 shown]
	v_sub_f32_e32 v2, v2, v5
	v_fmamk_f32 v14, v8, 0x3f5db3d7, v9
	v_fmac_f32_e32 v9, 0xbf5db3d7, v8
	v_fmamk_f32 v8, v17, 0x3f5db3d7, v10
	v_fmamk_f32 v16, v11, 0xbf5db3d7, v18
	v_fmac_f32_e32 v10, 0xbf5db3d7, v17
	v_fmac_f32_e32 v18, 0x3f5db3d7, v11
	v_add_f32_e32 v5, v3, v5
	v_add_f32_e32 v7, v12, v24
	;; [unrolled: 1-line block ×4, first 2 shown]
	v_mul_f32_e32 v11, 0x3f5db3d7, v16
	v_mul_f32_e32 v19, 0xbf5db3d7, v8
	v_mul_f32_e32 v17, -0.5, v10
	v_mul_f32_e32 v20, -0.5, v18
	v_fmamk_f32 v15, v2, 0xbf5db3d7, v13
	v_fmac_f32_e32 v13, 0x3f5db3d7, v2
	v_add_f32_e32 v2, v5, v6
	v_add_f32_e32 v3, v7, v12
	v_fmac_f32_e32 v11, 0.5, v8
	v_fmac_f32_e32 v19, 0.5, v16
	v_fmac_f32_e32 v17, 0x3f5db3d7, v18
	v_fmac_f32_e32 v20, 0xbf5db3d7, v10
	global_store_dwordx2 v[25:26], v[2:3], off
	v_add_f32_e32 v2, v14, v11
	v_add_f32_e32 v3, v15, v19
	v_sub_f32_e32 v4, v5, v6
	v_sub_f32_e32 v5, v7, v12
	v_add_f32_e32 v6, v9, v17
	v_add_f32_e32 v7, v13, v20
	v_sub_f32_e32 v8, v14, v11
	v_sub_f32_e32 v10, v9, v17
	;; [unrolled: 1-line block ×4, first 2 shown]
	global_store_dwordx2 v[27:28], v[2:3], off
	global_store_dwordx2 v[29:30], v[6:7], off
	;; [unrolled: 1-line block ×5, first 2 shown]
.LBB0_22:
	s_endpgm
	.section	.rodata,"a",@progbits
	.p2align	6, 0x0
	.amdhsa_kernel fft_rtc_fwd_len1122_factors_17_11_6_wgs_204_tpt_102_halfLds_sp_op_CI_CI_sbrr_dirReg
		.amdhsa_group_segment_fixed_size 0
		.amdhsa_private_segment_fixed_size 0
		.amdhsa_kernarg_size 104
		.amdhsa_user_sgpr_count 6
		.amdhsa_user_sgpr_private_segment_buffer 1
		.amdhsa_user_sgpr_dispatch_ptr 0
		.amdhsa_user_sgpr_queue_ptr 0
		.amdhsa_user_sgpr_kernarg_segment_ptr 1
		.amdhsa_user_sgpr_dispatch_id 0
		.amdhsa_user_sgpr_flat_scratch_init 0
		.amdhsa_user_sgpr_private_segment_size 0
		.amdhsa_wavefront_size32 1
		.amdhsa_uses_dynamic_stack 0
		.amdhsa_system_sgpr_private_segment_wavefront_offset 0
		.amdhsa_system_sgpr_workgroup_id_x 1
		.amdhsa_system_sgpr_workgroup_id_y 0
		.amdhsa_system_sgpr_workgroup_id_z 0
		.amdhsa_system_sgpr_workgroup_info 0
		.amdhsa_system_vgpr_workitem_id 0
		.amdhsa_next_free_vgpr 86
		.amdhsa_next_free_sgpr 31
		.amdhsa_reserve_vcc 1
		.amdhsa_reserve_flat_scratch 0
		.amdhsa_float_round_mode_32 0
		.amdhsa_float_round_mode_16_64 0
		.amdhsa_float_denorm_mode_32 3
		.amdhsa_float_denorm_mode_16_64 3
		.amdhsa_dx10_clamp 1
		.amdhsa_ieee_mode 1
		.amdhsa_fp16_overflow 0
		.amdhsa_workgroup_processor_mode 1
		.amdhsa_memory_ordered 1
		.amdhsa_forward_progress 0
		.amdhsa_shared_vgpr_count 0
		.amdhsa_exception_fp_ieee_invalid_op 0
		.amdhsa_exception_fp_denorm_src 0
		.amdhsa_exception_fp_ieee_div_zero 0
		.amdhsa_exception_fp_ieee_overflow 0
		.amdhsa_exception_fp_ieee_underflow 0
		.amdhsa_exception_fp_ieee_inexact 0
		.amdhsa_exception_int_div_zero 0
	.end_amdhsa_kernel
	.text
.Lfunc_end0:
	.size	fft_rtc_fwd_len1122_factors_17_11_6_wgs_204_tpt_102_halfLds_sp_op_CI_CI_sbrr_dirReg, .Lfunc_end0-fft_rtc_fwd_len1122_factors_17_11_6_wgs_204_tpt_102_halfLds_sp_op_CI_CI_sbrr_dirReg
                                        ; -- End function
	.section	.AMDGPU.csdata,"",@progbits
; Kernel info:
; codeLenInByte = 12032
; NumSgprs: 33
; NumVgprs: 86
; ScratchSize: 0
; MemoryBound: 0
; FloatMode: 240
; IeeeMode: 1
; LDSByteSize: 0 bytes/workgroup (compile time only)
; SGPRBlocks: 4
; VGPRBlocks: 10
; NumSGPRsForWavesPerEU: 33
; NumVGPRsForWavesPerEU: 86
; Occupancy: 10
; WaveLimiterHint : 1
; COMPUTE_PGM_RSRC2:SCRATCH_EN: 0
; COMPUTE_PGM_RSRC2:USER_SGPR: 6
; COMPUTE_PGM_RSRC2:TRAP_HANDLER: 0
; COMPUTE_PGM_RSRC2:TGID_X_EN: 1
; COMPUTE_PGM_RSRC2:TGID_Y_EN: 0
; COMPUTE_PGM_RSRC2:TGID_Z_EN: 0
; COMPUTE_PGM_RSRC2:TIDIG_COMP_CNT: 0
	.text
	.p2alignl 6, 3214868480
	.fill 48, 4, 3214868480
	.type	__hip_cuid_f810a0c28551a61b,@object ; @__hip_cuid_f810a0c28551a61b
	.section	.bss,"aw",@nobits
	.globl	__hip_cuid_f810a0c28551a61b
__hip_cuid_f810a0c28551a61b:
	.byte	0                               ; 0x0
	.size	__hip_cuid_f810a0c28551a61b, 1

	.ident	"AMD clang version 19.0.0git (https://github.com/RadeonOpenCompute/llvm-project roc-6.4.0 25133 c7fe45cf4b819c5991fe208aaa96edf142730f1d)"
	.section	".note.GNU-stack","",@progbits
	.addrsig
	.addrsig_sym __hip_cuid_f810a0c28551a61b
	.amdgpu_metadata
---
amdhsa.kernels:
  - .args:
      - .actual_access:  read_only
        .address_space:  global
        .offset:         0
        .size:           8
        .value_kind:     global_buffer
      - .offset:         8
        .size:           8
        .value_kind:     by_value
      - .actual_access:  read_only
        .address_space:  global
        .offset:         16
        .size:           8
        .value_kind:     global_buffer
      - .actual_access:  read_only
        .address_space:  global
        .offset:         24
        .size:           8
        .value_kind:     global_buffer
      - .actual_access:  read_only
        .address_space:  global
        .offset:         32
        .size:           8
        .value_kind:     global_buffer
      - .offset:         40
        .size:           8
        .value_kind:     by_value
      - .actual_access:  read_only
        .address_space:  global
        .offset:         48
        .size:           8
        .value_kind:     global_buffer
      - .actual_access:  read_only
        .address_space:  global
        .offset:         56
        .size:           8
        .value_kind:     global_buffer
      - .offset:         64
        .size:           4
        .value_kind:     by_value
      - .actual_access:  read_only
        .address_space:  global
        .offset:         72
        .size:           8
        .value_kind:     global_buffer
      - .actual_access:  read_only
        .address_space:  global
        .offset:         80
        .size:           8
        .value_kind:     global_buffer
      - .actual_access:  read_only
        .address_space:  global
        .offset:         88
        .size:           8
        .value_kind:     global_buffer
      - .actual_access:  write_only
        .address_space:  global
        .offset:         96
        .size:           8
        .value_kind:     global_buffer
    .group_segment_fixed_size: 0
    .kernarg_segment_align: 8
    .kernarg_segment_size: 104
    .language:       OpenCL C
    .language_version:
      - 2
      - 0
    .max_flat_workgroup_size: 204
    .name:           fft_rtc_fwd_len1122_factors_17_11_6_wgs_204_tpt_102_halfLds_sp_op_CI_CI_sbrr_dirReg
    .private_segment_fixed_size: 0
    .sgpr_count:     33
    .sgpr_spill_count: 0
    .symbol:         fft_rtc_fwd_len1122_factors_17_11_6_wgs_204_tpt_102_halfLds_sp_op_CI_CI_sbrr_dirReg.kd
    .uniform_work_group_size: 1
    .uses_dynamic_stack: false
    .vgpr_count:     86
    .vgpr_spill_count: 0
    .wavefront_size: 32
    .workgroup_processor_mode: 1
amdhsa.target:   amdgcn-amd-amdhsa--gfx1030
amdhsa.version:
  - 1
  - 2
...

	.end_amdgpu_metadata
